;; amdgpu-corpus repo=ROCm/rocFFT kind=compiled arch=gfx906 opt=O3
	.text
	.amdgcn_target "amdgcn-amd-amdhsa--gfx906"
	.amdhsa_code_object_version 6
	.protected	bluestein_single_fwd_len374_dim1_dp_op_CI_CI ; -- Begin function bluestein_single_fwd_len374_dim1_dp_op_CI_CI
	.globl	bluestein_single_fwd_len374_dim1_dp_op_CI_CI
	.p2align	8
	.type	bluestein_single_fwd_len374_dim1_dp_op_CI_CI,@function
bluestein_single_fwd_len374_dim1_dp_op_CI_CI: ; @bluestein_single_fwd_len374_dim1_dp_op_CI_CI
; %bb.0:
	s_mov_b64 s[62:63], s[2:3]
	v_mul_u32_u24_e32 v1, 0x788, v0
	s_mov_b64 s[60:61], s[0:1]
	s_load_dwordx4 s[0:3], s[4:5], 0x28
	v_lshrrev_b32_e32 v1, 16, v1
	s_add_u32 s60, s60, s7
	v_mad_u64_u32 v[4:5], s[6:7], s6, 7, v[1:2]
	v_mov_b32_e32 v5, 0
	s_addc_u32 s61, s61, 0
	s_waitcnt lgkmcnt(0)
	v_cmp_gt_u64_e32 vcc, s[0:1], v[4:5]
	s_and_saveexec_b64 s[0:1], vcc
	s_cbranch_execz .LBB0_23
; %bb.1:
	s_mov_b32 s0, 0x24924925
	v_mul_hi_u32 v2, v4, s0
	v_mul_lo_u16_e32 v1, 34, v1
	s_load_dwordx2 s[12:13], s[4:5], 0x0
	s_load_dwordx2 s[14:15], s[4:5], 0x38
	v_sub_u16_e32 v141, v0, v1
	v_sub_u32_e32 v3, v4, v2
	v_lshrrev_b32_e32 v3, 1, v3
	v_add_u32_e32 v2, v3, v2
	v_lshrrev_b32_e32 v2, 2, v2
	v_mul_lo_u32 v2, v2, 7
	v_mov_b32_e32 v0, v4
	buffer_store_dword v0, off, s[60:63], 0 offset:60 ; 4-byte Folded Spill
	s_nop 0
	buffer_store_dword v1, off, s[60:63], 0 offset:64 ; 4-byte Folded Spill
	v_cmp_gt_u16_e32 vcc, 22, v141
	v_sub_u32_e32 v0, v4, v2
	v_mul_u32_u24_e32 v168, 0x176, v0
	v_lshlrev_b32_e32 v0, 4, v141
	buffer_store_dword v0, off, s[60:63], 0 offset:56 ; 4-byte Folded Spill
	v_lshlrev_b32_e32 v0, 4, v168
	buffer_store_dword v0, off, s[60:63], 0 offset:52 ; 4-byte Folded Spill
	s_and_saveexec_b64 s[6:7], vcc
	s_cbranch_execz .LBB0_3
; %bb.2:
	s_load_dwordx2 s[0:1], s[4:5], 0x18
	v_lshlrev_b32_e32 v142, 4, v141
	s_waitcnt lgkmcnt(0)
	v_mov_b32_e32 v44, s13
	v_or_b32_e32 v125, 0x160, v141
	s_load_dwordx4 s[8:11], s[0:1], 0x0
	buffer_load_dword v0, off, s[60:63], 0 offset:60 ; 4-byte Folded Reload
	buffer_load_dword v1, off, s[60:63], 0 offset:64 ; 4-byte Folded Reload
	s_waitcnt lgkmcnt(0)
	v_mad_u64_u32 v[2:3], s[0:1], s8, v141, 0
	s_waitcnt vmcnt(1)
	v_mov_b32_e32 v4, v0
	s_waitcnt vmcnt(0)
	v_mad_u64_u32 v[0:1], s[0:1], s10, v4, 0
	v_mad_u64_u32 v[4:5], s[0:1], s11, v4, v[1:2]
	v_mad_u64_u32 v[5:6], s[0:1], s9, v141, v[3:4]
	v_mov_b32_e32 v1, v4
	v_lshlrev_b64 v[0:1], 4, v[0:1]
	v_mov_b32_e32 v3, v5
	v_mov_b32_e32 v6, s3
	v_lshlrev_b64 v[2:3], 4, v[2:3]
	v_add_co_u32_e64 v18, s[0:1], s2, v0
	v_addc_co_u32_e64 v19, s[0:1], v6, v1, s[0:1]
	v_add_co_u32_e64 v16, s[0:1], v18, v2
	v_addc_co_u32_e64 v17, s[0:1], v19, v3, s[0:1]
	;; [unrolled: 2-line block ×3, first 2 shown]
	s_mul_i32 s0, s9, 0x160
	s_mul_hi_u32 s1, s8, 0x160
	s_mul_i32 s2, s8, 0x160
	s_add_i32 s3, s1, s0
	global_load_dwordx4 v[0:3], v142, s[12:13]
	global_load_dwordx4 v[4:7], v[16:17], off
	v_mov_b32_e32 v48, s3
	v_add_co_u32_e64 v16, s[0:1], s2, v16
	v_addc_co_u32_e64 v17, s[0:1], v17, v48, s[0:1]
	v_mov_b32_e32 v53, s3
	v_add_co_u32_e64 v52, s[0:1], s2, v16
	v_addc_co_u32_e64 v53, s[0:1], v17, v53, s[0:1]
	global_load_dwordx4 v[8:11], v142, s[12:13] offset:352
	global_load_dwordx4 v[12:15], v142, s[12:13] offset:704
	;; [unrolled: 1-line block ×8, first 2 shown]
	v_mov_b32_e32 v54, s3
	global_load_dwordx4 v[48:51], v[16:17], off
	v_add_co_u32_e64 v16, s[0:1], s2, v52
	v_addc_co_u32_e64 v17, s[0:1], v53, v54, s[0:1]
	v_mov_b32_e32 v60, s3
	v_add_co_u32_e64 v63, s[0:1], s2, v16
	v_addc_co_u32_e64 v64, s[0:1], v17, v60, s[0:1]
	v_mov_b32_e32 v65, s3
	global_load_dwordx4 v[52:55], v[52:53], off
	v_mov_b32_e32 v68, s3
	global_load_dwordx4 v[56:59], v[16:17], off
	v_add_co_u32_e64 v16, s[0:1], s2, v63
	v_addc_co_u32_e64 v17, s[0:1], v64, v65, s[0:1]
	v_add_co_u32_e64 v71, s[0:1], s2, v16
	v_addc_co_u32_e64 v72, s[0:1], v17, v68, s[0:1]
	v_mov_b32_e32 v73, s3
	global_load_dwordx4 v[60:63], v[63:64], off
	v_mov_b32_e32 v76, s3
	global_load_dwordx4 v[64:67], v[16:17], off
	v_add_co_u32_e64 v16, s[0:1], s2, v71
	v_addc_co_u32_e64 v17, s[0:1], v72, v73, s[0:1]
	;; [unrolled: 8-line block ×3, first 2 shown]
	v_add_co_u32_e64 v96, s[0:1], s2, v16
	v_addc_co_u32_e64 v97, s[0:1], v17, v84, s[0:1]
	global_load_dwordx4 v[76:79], v[79:80], off
	v_lshlrev_b32_e32 v44, 4, v125
	global_load_dwordx4 v[80:83], v[16:17], off
	v_mov_b32_e32 v17, s3
	v_add_co_u32_e64 v16, s[0:1], s2, v96
	v_addc_co_u32_e64 v17, s[0:1], v97, v17, s[0:1]
	global_load_dwordx4 v[44:47], v44, s[12:13]
	s_nop 0
	global_load_dwordx4 v[84:87], v[96:97], off
	global_load_dwordx4 v[88:91], v142, s[12:13] offset:3168
	global_load_dwordx4 v[92:95], v142, s[12:13] offset:3520
	s_nop 0
	global_load_dwordx4 v[96:99], v[16:17], off
	global_load_dwordx4 v[100:103], v142, s[12:13] offset:3872
	v_mov_b32_e32 v104, s3
	v_add_co_u32_e64 v16, s[0:1], s2, v16
	v_addc_co_u32_e64 v17, s[0:1], v17, v104, s[0:1]
	s_movk_i32 s0, 0x1000
	v_add_co_u32_e64 v132, s[0:1], s0, v108
	v_addc_co_u32_e64 v133, s[0:1], 0, v109, s[0:1]
	global_load_dwordx4 v[104:107], v[16:17], off
	v_mov_b32_e32 v108, s3
	v_add_co_u32_e64 v16, s[0:1], s2, v16
	v_addc_co_u32_e64 v17, s[0:1], v17, v108, s[0:1]
	global_load_dwordx4 v[108:111], v[16:17], off
	global_load_dwordx4 v[112:115], v[132:133], off offset:128
	global_load_dwordx4 v[116:119], v[132:133], off offset:480
	v_mov_b32_e32 v120, s3
	v_add_co_u32_e64 v16, s[0:1], s2, v16
	v_addc_co_u32_e64 v17, s[0:1], v17, v120, s[0:1]
	v_mad_u64_u32 v[138:139], s[0:1], s8, v125, 0
	global_load_dwordx4 v[120:123], v[16:17], off
	v_mov_b32_e32 v124, s3
	v_add_co_u32_e64 v16, s[0:1], s2, v16
	v_addc_co_u32_e64 v17, s[0:1], v17, v124, s[0:1]
	v_mov_b32_e32 v124, v139
	v_mad_u64_u32 v[139:140], s[0:1], s9, v125, v[124:125]
	global_load_dwordx4 v[124:127], v[16:17], off
	global_load_dwordx4 v[128:131], v[132:133], off offset:832
	s_nop 0
	global_load_dwordx4 v[132:135], v[132:133], off offset:1184
	s_waitcnt vmcnt(31)
	v_mul_f64 v[136:137], v[6:7], v[2:3]
	v_lshlrev_b64 v[16:17], 4, v[138:139]
	v_mul_f64 v[138:139], v[4:5], v[2:3]
	v_add_co_u32_e64 v16, s[0:1], v18, v16
	v_addc_co_u32_e64 v17, s[0:1], v19, v17, s[0:1]
	global_load_dwordx4 v[16:19], v[16:17], off
	v_fma_f64 v[2:3], v[4:5], v[0:1], v[136:137]
	v_lshlrev_b32_e32 v136, 4, v168
	v_fma_f64 v[4:5], v[6:7], v[0:1], -v[138:139]
	v_lshl_add_u32 v6, v141, 4, v136
	s_waitcnt vmcnt(23)
	v_mul_f64 v[0:1], v[50:51], v[10:11]
	ds_write_b128 v6, v[2:5]
	v_mul_f64 v[2:3], v[48:49], v[10:11]
	s_waitcnt vmcnt(22)
	v_mul_f64 v[4:5], v[54:55], v[14:15]
	v_mul_f64 v[6:7], v[52:53], v[14:15]
	s_waitcnt vmcnt(21)
	v_mul_f64 v[10:11], v[58:59], v[22:23]
	;; [unrolled: 3-line block ×3, first 2 shown]
	v_mul_f64 v[26:27], v[60:61], v[26:27]
	v_fma_f64 v[0:1], v[48:49], v[8:9], v[0:1]
	v_fma_f64 v[2:3], v[50:51], v[8:9], -v[2:3]
	v_fma_f64 v[4:5], v[52:53], v[12:13], v[4:5]
	v_fma_f64 v[6:7], v[54:55], v[12:13], -v[6:7]
	;; [unrolled: 2-line block ×3, first 2 shown]
	v_fma_f64 v[12:13], v[60:61], v[24:25], v[22:23]
	s_waitcnt vmcnt(19)
	v_mul_f64 v[20:21], v[66:67], v[30:31]
	v_mul_f64 v[22:23], v[64:65], v[30:31]
	v_fma_f64 v[14:15], v[62:63], v[24:25], -v[26:27]
	s_waitcnt vmcnt(18)
	v_mul_f64 v[24:25], v[70:71], v[34:35]
	v_mul_f64 v[26:27], v[68:69], v[34:35]
	s_waitcnt vmcnt(17)
	v_mul_f64 v[30:31], v[74:75], v[38:39]
	v_mul_f64 v[34:35], v[72:73], v[38:39]
	;; [unrolled: 3-line block ×3, first 2 shown]
	v_fma_f64 v[20:21], v[64:65], v[28:29], v[20:21]
	v_fma_f64 v[22:23], v[66:67], v[28:29], -v[22:23]
	v_fma_f64 v[24:25], v[68:69], v[32:33], v[24:25]
	v_fma_f64 v[26:27], v[70:71], v[32:33], -v[26:27]
	;; [unrolled: 2-line block ×3, first 2 shown]
	v_add_u32_e32 v48, v136, v142
	v_fma_f64 v[32:33], v[76:77], v[40:41], v[38:39]
	v_fma_f64 v[34:35], v[78:79], v[40:41], -v[42:43]
	ds_write_b128 v48, v[0:3] offset:352
	ds_write_b128 v48, v[4:7] offset:704
	;; [unrolled: 1-line block ×8, first 2 shown]
	s_waitcnt vmcnt(12)
	v_mul_f64 v[0:1], v[82:83], v[90:91]
	v_mul_f64 v[2:3], v[80:81], v[90:91]
	s_waitcnt vmcnt(11)
	v_mul_f64 v[4:5], v[86:87], v[94:95]
	v_mul_f64 v[6:7], v[84:85], v[94:95]
	;; [unrolled: 3-line block ×3, first 2 shown]
	v_fma_f64 v[0:1], v[80:81], v[88:89], v[0:1]
	s_waitcnt vmcnt(6)
	v_mul_f64 v[12:13], v[106:107], v[114:115]
	v_mul_f64 v[14:15], v[104:105], v[114:115]
	s_waitcnt vmcnt(5)
	v_mul_f64 v[20:21], v[110:111], v[118:119]
	v_mul_f64 v[22:23], v[108:109], v[118:119]
	v_fma_f64 v[2:3], v[82:83], v[88:89], -v[2:3]
	v_fma_f64 v[4:5], v[84:85], v[92:93], v[4:5]
	v_fma_f64 v[6:7], v[86:87], v[92:93], -v[6:7]
	v_fma_f64 v[8:9], v[96:97], v[100:101], v[8:9]
	v_fma_f64 v[10:11], v[98:99], v[100:101], -v[10:11]
	v_fma_f64 v[12:13], v[104:105], v[112:113], v[12:13]
	v_fma_f64 v[14:15], v[106:107], v[112:113], -v[14:15]
	v_fma_f64 v[20:21], v[108:109], v[116:117], v[20:21]
	v_fma_f64 v[22:23], v[110:111], v[116:117], -v[22:23]
	s_waitcnt vmcnt(2)
	v_mul_f64 v[24:25], v[122:123], v[130:131]
	v_mul_f64 v[26:27], v[120:121], v[130:131]
	s_waitcnt vmcnt(1)
	v_mul_f64 v[28:29], v[126:127], v[134:135]
	v_mul_f64 v[30:31], v[124:125], v[134:135]
	v_fma_f64 v[24:25], v[120:121], v[128:129], v[24:25]
	s_waitcnt vmcnt(0)
	v_mul_f64 v[32:33], v[18:19], v[46:47]
	v_mul_f64 v[34:35], v[16:17], v[46:47]
	v_fma_f64 v[26:27], v[122:123], v[128:129], -v[26:27]
	v_fma_f64 v[28:29], v[124:125], v[132:133], v[28:29]
	v_fma_f64 v[30:31], v[126:127], v[132:133], -v[30:31]
	v_fma_f64 v[16:17], v[16:17], v[44:45], v[32:33]
	v_fma_f64 v[18:19], v[18:19], v[44:45], -v[34:35]
	ds_write_b128 v48, v[0:3] offset:3168
	ds_write_b128 v48, v[4:7] offset:3520
	;; [unrolled: 1-line block ×8, first 2 shown]
.LBB0_3:
	s_or_b64 exec, exec, s[6:7]
	buffer_store_dword v141, off, s[60:63], 0 ; 4-byte Folded Spill
	s_waitcnt vmcnt(0) lgkmcnt(0)
	s_barrier
	s_waitcnt lgkmcnt(0)
                                        ; implicit-def: $vgpr20_vgpr21
                                        ; implicit-def: $vgpr84_vgpr85
                                        ; implicit-def: $vgpr88_vgpr89
                                        ; implicit-def: $vgpr92_vgpr93
                                        ; implicit-def: $vgpr76_vgpr77
                                        ; implicit-def: $vgpr68_vgpr69
                                        ; implicit-def: $vgpr32_vgpr33
                                        ; implicit-def: $vgpr24_vgpr25
                                        ; implicit-def: $vgpr28_vgpr29
                                        ; implicit-def: $vgpr36_vgpr37
                                        ; implicit-def: $vgpr40_vgpr41
                                        ; implicit-def: $vgpr44_vgpr45
                                        ; implicit-def: $vgpr48_vgpr49
                                        ; implicit-def: $vgpr52_vgpr53
                                        ; implicit-def: $vgpr56_vgpr57
                                        ; implicit-def: $vgpr60_vgpr61
                                        ; implicit-def: $vgpr64_vgpr65
	s_and_saveexec_b64 s[0:1], vcc
	s_cbranch_execz .LBB0_5
; %bb.4:
	buffer_load_dword v0, off, s[60:63], 0 offset:56 ; 4-byte Folded Reload
	s_waitcnt vmcnt(0)
	v_lshl_add_u32 v0, v168, 4, v0
	ds_read_b128 v[20:23], v0
	ds_read_b128 v[84:87], v0 offset:352
	ds_read_b128 v[88:91], v0 offset:704
	;; [unrolled: 1-line block ×16, first 2 shown]
.LBB0_5:
	s_or_b64 exec, exec, s[0:1]
	s_waitcnt lgkmcnt(0)
	v_add_f64 v[187:188], v[86:87], -v[66:67]
	v_add_f64 v[169:170], v[84:85], -v[64:65]
	s_mov_b32 s28, 0x2a9d6da3
	s_mov_b32 s30, 0x7c9e640b
	;; [unrolled: 1-line block ×4, first 2 shown]
	v_add_f64 v[227:228], v[90:91], -v[62:63]
	v_add_f64 v[209:210], v[88:89], -v[60:61]
	v_mul_f64 v[8:9], v[187:188], s[30:31]
	v_mul_f64 v[6:7], v[169:170], s[28:29]
	;; [unrolled: 1-line block ×3, first 2 shown]
	s_mov_b32 s34, 0xeb564b22
	s_mov_b32 s38, 0x6c9a05f6
	;; [unrolled: 1-line block ×4, first 2 shown]
	v_mul_f64 v[16:17], v[227:228], s[34:35]
	buffer_store_dword v6, off, s[60:63], 0 offset:88 ; 4-byte Folded Spill
	s_nop 0
	buffer_store_dword v7, off, s[60:63], 0 offset:92 ; 4-byte Folded Spill
	buffer_store_dword v8, off, s[60:63], 0 offset:104 ; 4-byte Folded Spill
	s_nop 0
	buffer_store_dword v9, off, s[60:63], 0 offset:108 ; 4-byte Folded Spill
	;; [unrolled: 3-line block ×3, first 2 shown]
	v_mul_f64 v[18:19], v[209:210], s[34:35]
	v_mul_f64 v[72:73], v[227:228], s[38:39]
	;; [unrolled: 1-line block ×3, first 2 shown]
	buffer_store_dword v16, off, s[60:63], 0 offset:72 ; 4-byte Folded Spill
	s_nop 0
	buffer_store_dword v17, off, s[60:63], 0 offset:76 ; 4-byte Folded Spill
	buffer_store_dword v18, off, s[60:63], 0 offset:152 ; 4-byte Folded Spill
	s_nop 0
	buffer_store_dword v19, off, s[60:63], 0 offset:156 ; 4-byte Folded Spill
	;; [unrolled: 3-line block ×4, first 2 shown]
	s_mov_b32 s26, 0x5d8e7cdc
	s_mov_b32 s27, 0xbfd71e95
	v_add_f64 v[110:111], v[84:85], v[64:65]
	v_add_f64 v[112:113], v[86:87], v[66:67]
	v_mul_f64 v[132:133], v[187:188], s[26:27]
	v_mul_f64 v[134:135], v[169:170], s[26:27]
	s_mov_b32 s0, 0x370991
	s_mov_b32 s1, 0x3fedd6d0
	v_mul_f64 v[140:141], v[187:188], s[28:29]
	v_add_f64 v[136:137], v[88:89], v[60:61]
	v_add_f64 v[138:139], v[90:91], v[62:63]
	v_mul_f64 v[142:143], v[227:228], s[28:29]
	v_fma_f64 v[0:1], v[110:111], s[0:1], v[132:133]
	v_fma_f64 v[2:3], v[112:113], s[0:1], -v[134:135]
	v_mul_f64 v[144:145], v[209:210], s[28:29]
	s_mov_b32 s18, 0x75d4884
	s_mov_b32 s2, 0x2b2883cd
	;; [unrolled: 1-line block ×4, first 2 shown]
	v_fma_f64 v[4:5], v[110:111], s[18:19], v[140:141]
	v_add_f64 v[0:1], v[20:21], v[0:1]
	v_add_f64 v[2:3], v[22:23], v[2:3]
	v_fma_f64 v[12:13], v[136:137], s[18:19], v[142:143]
	v_fma_f64 v[14:15], v[138:139], s[18:19], -v[144:145]
	v_add_f64 v[235:236], v[94:95], -v[58:59]
	v_add_f64 v[233:234], v[92:93], -v[56:57]
	s_mov_b32 s6, 0x3259b75e
	s_mov_b32 s20, 0x6ed5f1bb
	;; [unrolled: 1-line block ×4, first 2 shown]
	v_add_f64 v[4:5], v[20:21], v[4:5]
	v_add_f64 v[0:1], v[12:13], v[0:1]
	;; [unrolled: 1-line block ×3, first 2 shown]
	v_mul_f64 v[12:13], v[235:236], s[30:31]
	v_mul_f64 v[14:15], v[233:234], s[30:31]
	s_mov_b32 s42, 0xacd6c6b4
	s_mov_b32 s43, 0xbfc7851a
	;; [unrolled: 1-line block ×4, first 2 shown]
	buffer_store_dword v12, off, s[60:63], 0 offset:120 ; 4-byte Folded Spill
	s_nop 0
	buffer_store_dword v13, off, s[60:63], 0 offset:124 ; 4-byte Folded Spill
	buffer_store_dword v14, off, s[60:63], 0 offset:128 ; 4-byte Folded Spill
	s_nop 0
	buffer_store_dword v15, off, s[60:63], 0 offset:132 ; 4-byte Folded Spill
	v_add_f64 v[148:149], v[92:93], v[56:57]
	v_add_f64 v[152:153], v[94:95], v[58:59]
	v_add_f64 v[241:242], v[78:79], -v[54:55]
	v_add_f64 v[237:238], v[76:77], -v[52:53]
	s_mov_b32 s22, 0x7faef3
	s_mov_b32 s23, 0xbfef7484
	v_add_f64 v[164:165], v[76:77], v[52:53]
	v_add_f64 v[166:167], v[78:79], v[54:55]
	s_mov_b32 s36, 0x923c349f
	s_mov_b32 s37, 0xbfeec746
	;; [unrolled: 1-line block ×4, first 2 shown]
	v_add_f64 v[245:246], v[70:71], -v[50:51]
	v_add_f64 v[243:244], v[68:69], -v[48:49]
	s_mov_b32 s10, 0xc61f0d01
	s_mov_b32 s40, 0x4363dd80
	;; [unrolled: 1-line block ×8, first 2 shown]
	v_fma_f64 v[6:7], v[112:113], s[18:19], -v[6:7]
	v_fma_f64 v[8:9], v[110:111], s[2:3], v[8:9]
	v_fma_f64 v[10:11], v[112:113], s[2:3], -v[10:11]
	v_mul_f64 v[98:99], v[245:246], s[52:53]
	v_mul_f64 v[102:103], v[243:244], s[52:53]
	v_add_f64 v[183:184], v[68:69], v[48:49]
	v_fma_f64 v[16:17], v[136:137], s[6:7], v[16:17]
	v_add_f64 v[185:186], v[70:71], v[50:51]
	v_add_f64 v[6:7], v[22:23], v[6:7]
	;; [unrolled: 1-line block ×4, first 2 shown]
	v_fma_f64 v[18:19], v[138:139], s[6:7], -v[18:19]
	v_fma_f64 v[72:73], v[136:137], s[20:21], v[72:73]
	v_fma_f64 v[74:75], v[138:139], s[20:21], -v[74:75]
	v_add_f64 v[4:5], v[16:17], v[4:5]
	v_mul_f64 v[16:17], v[235:236], s[38:39]
	buffer_store_dword v16, off, s[60:63], 0 offset:136 ; 4-byte Folded Spill
	s_nop 0
	buffer_store_dword v17, off, s[60:63], 0 offset:140 ; 4-byte Folded Spill
	v_add_f64 v[6:7], v[18:19], v[6:7]
	v_add_f64 v[8:9], v[72:73], v[8:9]
	;; [unrolled: 1-line block ×3, first 2 shown]
	v_mul_f64 v[18:19], v[233:234], s[38:39]
	v_mul_f64 v[72:73], v[235:236], s[50:51]
	;; [unrolled: 1-line block ×3, first 2 shown]
	buffer_store_dword v18, off, s[60:63], 0 offset:232 ; 4-byte Folded Spill
	s_nop 0
	buffer_store_dword v19, off, s[60:63], 0 offset:236 ; 4-byte Folded Spill
	buffer_store_dword v72, off, s[60:63], 0 offset:312 ; 4-byte Folded Spill
	s_nop 0
	buffer_store_dword v73, off, s[60:63], 0 offset:316 ; 4-byte Folded Spill
	;; [unrolled: 3-line block ×3, first 2 shown]
	v_add_f64 v[114:115], v[34:35], -v[46:47]
	v_add_f64 v[100:101], v[32:33], -v[44:45]
	s_mov_b32 s16, 0x910ea3b9
	s_mov_b32 s17, 0xbfeb34fa
	v_add_f64 v[199:200], v[32:33], v[44:45]
	v_add_f64 v[203:204], v[34:35], v[46:47]
	v_add_f64 v[128:129], v[26:27], -v[42:43]
	v_add_f64 v[126:127], v[24:25], -v[40:41]
	v_mul_f64 v[82:83], v[114:115], s[38:39]
	v_mul_f64 v[96:97], v[100:101], s[38:39]
	v_add_f64 v[205:206], v[24:25], v[40:41]
	v_add_f64 v[211:212], v[26:27], v[42:43]
	s_mov_b32 s45, 0x3feca52d
	s_mov_b32 s44, s30
	v_add_f64 v[177:178], v[30:31], -v[38:39]
	v_add_f64 v[158:159], v[28:29], -v[36:37]
	s_mov_b32 s55, 0x3fd71e95
	v_fma_f64 v[12:13], v[148:149], s[2:3], v[12:13]
	v_fma_f64 v[14:15], v[152:153], s[2:3], -v[14:15]
	s_mov_b32 s54, s26
	v_add_f64 v[221:222], v[28:29], v[36:37]
	v_mul_f64 v[80:81], v[187:188], s[34:35]
	v_add_f64 v[223:224], v[30:31], v[38:39]
	s_mov_b32 s57, 0x3fe9895b
	s_mov_b32 s56, s38
	v_add_f64 v[0:1], v[12:13], v[0:1]
	v_add_f64 v[2:3], v[14:15], v[2:3]
	v_mul_f64 v[154:155], v[169:170], s[36:37]
	v_mul_f64 v[156:157], v[209:210], s[48:49]
	;; [unrolled: 1-line block ×4, first 2 shown]
	s_mov_b32 s59, 0x3fefdd0d
	s_mov_b32 s58, s34
	v_mul_f64 v[171:172], v[243:244], s[42:43]
	v_mul_f64 v[173:174], v[100:101], s[58:59]
	;; [unrolled: 1-line block ×31, first 2 shown]
	v_fma_f64 v[12:13], v[148:149], s[20:21], v[16:17]
	v_mul_f64 v[122:123], v[100:101], s[42:43]
	v_mul_f64 v[124:125], v[126:127], s[52:53]
	;; [unrolled: 1-line block ×4, first 2 shown]
	v_add_f64 v[4:5], v[12:13], v[4:5]
	v_fma_f64 v[14:15], v[152:153], s[20:21], -v[18:19]
	v_fma_f64 v[16:17], v[148:149], s[22:23], v[72:73]
	v_fma_f64 v[18:19], v[152:153], s[22:23], -v[74:75]
	v_mul_f64 v[72:73], v[241:242], s[34:35]
	v_mul_f64 v[74:75], v[237:238], s[34:35]
	buffer_store_dword v72, off, s[60:63], 0 offset:160 ; 4-byte Folded Spill
	s_nop 0
	buffer_store_dword v73, off, s[60:63], 0 offset:164 ; 4-byte Folded Spill
	buffer_store_dword v74, off, s[60:63], 0 offset:176 ; 4-byte Folded Spill
	s_nop 0
	buffer_store_dword v75, off, s[60:63], 0 offset:180 ; 4-byte Folded Spill
	v_add_f64 v[8:9], v[16:17], v[8:9]
	v_add_f64 v[10:11], v[18:19], v[10:11]
	v_mul_f64 v[16:17], v[241:242], s[42:43]
	v_mul_f64 v[18:19], v[237:238], s[42:43]
	v_add_f64 v[6:7], v[14:15], v[6:7]
	buffer_store_dword v16, off, s[60:63], 0 offset:208 ; 4-byte Folded Spill
	s_nop 0
	buffer_store_dword v17, off, s[60:63], 0 offset:212 ; 4-byte Folded Spill
	buffer_store_dword v18, off, s[60:63], 0 offset:320 ; 4-byte Folded Spill
	s_nop 0
	buffer_store_dword v19, off, s[60:63], 0 offset:324 ; 4-byte Folded Spill
	v_fma_f64 v[12:13], v[164:165], s[6:7], v[72:73]
	v_fma_f64 v[14:15], v[166:167], s[6:7], -v[74:75]
	v_mul_f64 v[72:73], v[241:242], s[46:47]
	v_mul_f64 v[74:75], v[237:238], s[46:47]
	buffer_store_dword v72, off, s[60:63], 0 offset:384 ; 4-byte Folded Spill
	s_nop 0
	buffer_store_dword v73, off, s[60:63], 0 offset:388 ; 4-byte Folded Spill
	buffer_store_dword v74, off, s[60:63], 0 offset:432 ; 4-byte Folded Spill
	s_nop 0
	buffer_store_dword v75, off, s[60:63], 0 offset:436 ; 4-byte Folded Spill
	v_fma_f64 v[16:17], v[164:165], s[22:23], v[16:17]
	v_fma_f64 v[18:19], v[166:167], s[22:23], -v[18:19]
	v_add_f64 v[0:1], v[12:13], v[0:1]
	v_add_f64 v[2:3], v[14:15], v[2:3]
	;; [unrolled: 1-line block ×4, first 2 shown]
	v_mul_f64 v[16:17], v[245:246], s[36:37]
	v_mul_f64 v[18:19], v[243:244], s[36:37]
	buffer_store_dword v16, off, s[60:63], 0 offset:248 ; 4-byte Folded Spill
	s_nop 0
	buffer_store_dword v17, off, s[60:63], 0 offset:252 ; 4-byte Folded Spill
	buffer_store_dword v18, off, s[60:63], 0 offset:264 ; 4-byte Folded Spill
	s_nop 0
	buffer_store_dword v19, off, s[60:63], 0 offset:268 ; 4-byte Folded Spill
	v_fma_f64 v[12:13], v[164:165], s[10:11], v[72:73]
	v_fma_f64 v[14:15], v[166:167], s[10:11], -v[74:75]
	v_mul_f64 v[72:73], v[245:246], s[48:49]
	v_mul_f64 v[74:75], v[243:244], s[48:49]
	buffer_store_dword v72, off, s[60:63], 0 offset:280 ; 4-byte Folded Spill
	s_nop 0
	buffer_store_dword v73, off, s[60:63], 0 offset:284 ; 4-byte Folded Spill
	buffer_store_dword v74, off, s[60:63], 0 offset:352 ; 4-byte Folded Spill
	s_nop 0
	buffer_store_dword v75, off, s[60:63], 0 offset:356 ; 4-byte Folded Spill
	;; [unrolled: 3-line block ×4, first 2 shown]
	v_add_f64 v[8:9], v[12:13], v[8:9]
	v_add_f64 v[10:11], v[14:15], v[10:11]
	buffer_store_dword v82, off, s[60:63], 0 offset:328 ; 4-byte Folded Spill
	s_nop 0
	buffer_store_dword v83, off, s[60:63], 0 offset:332 ; 4-byte Folded Spill
	buffer_store_dword v96, off, s[60:63], 0 offset:336 ; 4-byte Folded Spill
	s_nop 0
	buffer_store_dword v97, off, s[60:63], 0 offset:340 ; 4-byte Folded Spill
	v_fma_f64 v[12:13], v[183:184], s[10:11], v[16:17]
	v_fma_f64 v[14:15], v[185:186], s[10:11], -v[18:19]
	v_add_f64 v[0:1], v[12:13], v[0:1]
	v_add_f64 v[2:3], v[14:15], v[2:3]
	v_fma_f64 v[16:17], v[183:184], s[16:17], v[72:73]
	v_fma_f64 v[18:19], v[185:186], s[16:17], -v[74:75]
	v_fma_f64 v[72:73], v[183:184], s[18:19], v[98:99]
	v_fma_f64 v[74:75], v[185:186], s[18:19], -v[102:103]
	v_mul_f64 v[98:99], v[114:115], s[42:43]
	v_mul_f64 v[102:103], v[128:129], s[52:53]
	v_fma_f64 v[12:13], v[199:200], s[20:21], v[82:83]
	v_fma_f64 v[14:15], v[203:204], s[20:21], -v[96:97]
	v_add_f64 v[4:5], v[16:17], v[4:5]
	v_add_f64 v[6:7], v[18:19], v[6:7]
	;; [unrolled: 1-line block ×4, first 2 shown]
	v_mul_f64 v[16:17], v[114:115], s[46:47]
	v_mul_f64 v[72:73], v[100:101], s[46:47]
	;; [unrolled: 1-line block ×4, first 2 shown]
	buffer_store_dword v16, off, s[60:63], 0 offset:344 ; 4-byte Folded Spill
	s_nop 0
	buffer_store_dword v17, off, s[60:63], 0 offset:348 ; 4-byte Folded Spill
	buffer_store_dword v72, off, s[60:63], 0 offset:400 ; 4-byte Folded Spill
	s_nop 0
	buffer_store_dword v73, off, s[60:63], 0 offset:404 ; 4-byte Folded Spill
	;; [unrolled: 3-line block ×4, first 2 shown]
	v_add_f64 v[0:1], v[12:13], v[0:1]
	v_add_f64 v[2:3], v[14:15], v[2:3]
	v_mul_f64 v[96:97], v[126:127], s[34:35]
	v_mul_f64 v[82:83], v[158:159], s[54:55]
	v_fma_f64 v[12:13], v[199:200], s[10:11], v[16:17]
	v_fma_f64 v[14:15], v[203:204], s[10:11], -v[72:73]
	v_fma_f64 v[16:17], v[199:200], s[0:1], v[18:19]
	v_fma_f64 v[18:19], v[203:204], s[0:1], -v[74:75]
	v_mul_f64 v[72:73], v[128:129], s[40:41]
	v_mul_f64 v[74:75], v[126:127], s[40:41]
	buffer_store_dword v72, off, s[60:63], 0 offset:360 ; 4-byte Folded Spill
	s_nop 0
	buffer_store_dword v73, off, s[60:63], 0 offset:364 ; 4-byte Folded Spill
	buffer_store_dword v74, off, s[60:63], 0 offset:368 ; 4-byte Folded Spill
	s_nop 0
	buffer_store_dword v75, off, s[60:63], 0 offset:372 ; 4-byte Folded Spill
	v_add_f64 v[4:5], v[12:13], v[4:5]
	v_add_f64 v[6:7], v[14:15], v[6:7]
	;; [unrolled: 1-line block ×3, first 2 shown]
	v_mul_f64 v[16:17], v[177:178], s[42:43]
	v_add_f64 v[10:11], v[18:19], v[10:11]
	v_mul_f64 v[18:19], v[158:159], s[42:43]
	v_fma_f64 v[12:13], v[205:206], s[16:17], v[72:73]
	v_fma_f64 v[14:15], v[211:212], s[16:17], -v[74:75]
	v_mul_f64 v[72:73], v[128:129], s[44:45]
	v_mul_f64 v[74:75], v[126:127], s[44:45]
	buffer_store_dword v72, off, s[60:63], 0 offset:424 ; 4-byte Folded Spill
	s_nop 0
	buffer_store_dword v73, off, s[60:63], 0 offset:428 ; 4-byte Folded Spill
	buffer_store_dword v74, off, s[60:63], 0 offset:448 ; 4-byte Folded Spill
	s_nop 0
	buffer_store_dword v75, off, s[60:63], 0 offset:452 ; 4-byte Folded Spill
	v_add_f64 v[0:1], v[12:13], v[0:1]
	v_add_f64 v[2:3], v[14:15], v[2:3]
	buffer_store_dword v16, off, s[60:63], 0 offset:408 ; 4-byte Folded Spill
	s_nop 0
	buffer_store_dword v17, off, s[60:63], 0 offset:412 ; 4-byte Folded Spill
	buffer_store_dword v18, off, s[60:63], 0 offset:416 ; 4-byte Folded Spill
	s_nop 0
	buffer_store_dword v19, off, s[60:63], 0 offset:420 ; 4-byte Folded Spill
	v_fma_f64 v[12:13], v[205:206], s[2:3], v[72:73]
	v_fma_f64 v[14:15], v[211:212], s[2:3], -v[74:75]
	v_mul_f64 v[74:75], v[128:129], s[34:35]
	v_mul_f64 v[72:73], v[177:178], s[54:55]
	buffer_store_dword v74, off, s[60:63], 0 offset:456 ; 4-byte Folded Spill
	s_nop 0
	buffer_store_dword v75, off, s[60:63], 0 offset:460 ; 4-byte Folded Spill
	buffer_store_dword v96, off, s[60:63], 0 offset:512 ; 4-byte Folded Spill
	s_nop 0
	buffer_store_dword v97, off, s[60:63], 0 offset:516 ; 4-byte Folded Spill
	;; [unrolled: 3-line block ×3, first 2 shown]
	v_fma_f64 v[16:17], v[221:222], s[22:23], v[16:17]
	v_add_f64 v[4:5], v[12:13], v[4:5]
	buffer_store_dword v82, off, s[60:63], 0 offset:472 ; 4-byte Folded Spill
	s_nop 0
	buffer_store_dword v83, off, s[60:63], 0 offset:476 ; 4-byte Folded Spill
	buffer_store_dword v80, off, s[60:63], 0 offset:224 ; 4-byte Folded Spill
	s_nop 0
	buffer_store_dword v81, off, s[60:63], 0 offset:228 ; 4-byte Folded Spill
	v_fma_f64 v[18:19], v[223:224], s[22:23], -v[18:19]
	v_add_f64 v[6:7], v[14:15], v[6:7]
	v_add_f64 v[16:17], v[16:17], v[0:1]
	;; [unrolled: 1-line block ×3, first 2 shown]
	v_fma_f64 v[12:13], v[205:206], s[6:7], v[74:75]
	v_mul_f64 v[74:75], v[158:159], s[40:41]
	v_fma_f64 v[0:1], v[221:222], s[0:1], v[72:73]
	v_mul_f64 v[72:73], v[177:178], s[40:41]
	buffer_store_dword v72, off, s[60:63], 0 offset:480 ; 4-byte Folded Spill
	s_nop 0
	buffer_store_dword v73, off, s[60:63], 0 offset:484 ; 4-byte Folded Spill
	buffer_store_dword v74, off, s[60:63], 0 offset:488 ; 4-byte Folded Spill
	s_nop 0
	buffer_store_dword v75, off, s[60:63], 0 offset:492 ; 4-byte Folded Spill
	v_fma_f64 v[14:15], v[211:212], s[6:7], -v[96:97]
	v_fma_f64 v[2:3], v[223:224], s[0:1], -v[82:83]
	v_add_f64 v[8:9], v[12:13], v[8:9]
	v_add_f64 v[4:5], v[0:1], v[4:5]
	v_fma_f64 v[12:13], v[110:111], s[6:7], v[80:81]
	v_mul_f64 v[96:97], v[245:246], s[26:27]
	v_add_f64 v[10:11], v[14:15], v[10:11]
	v_add_f64 v[6:7], v[2:3], v[6:7]
	v_mul_f64 v[14:15], v[227:228], s[42:43]
	v_add_f64 v[12:13], v[20:21], v[12:13]
	v_fma_f64 v[0:1], v[221:222], s[16:17], v[72:73]
	v_fma_f64 v[2:3], v[223:224], s[16:17], -v[74:75]
	v_fma_f64 v[72:73], v[138:139], s[10:11], -v[215:216]
	v_add_f64 v[0:1], v[0:1], v[8:9]
	v_add_f64 v[2:3], v[2:3], v[10:11]
	buffer_store_dword v0, off, s[60:63], 0 offset:4 ; 4-byte Folded Spill
	s_nop 0
	buffer_store_dword v1, off, s[60:63], 0 offset:8 ; 4-byte Folded Spill
	buffer_store_dword v2, off, s[60:63], 0 offset:12 ; 4-byte Folded Spill
	;; [unrolled: 1-line block ×4, first 2 shown]
	s_nop 0
	buffer_store_dword v15, off, s[60:63], 0 offset:532 ; 4-byte Folded Spill
	v_mul_f64 v[2:3], v[169:170], s[34:35]
	v_mul_f64 v[8:9], v[209:210], s[42:43]
	buffer_store_dword v2, off, s[60:63], 0 offset:568 ; 4-byte Folded Spill
	s_nop 0
	buffer_store_dword v3, off, s[60:63], 0 offset:572 ; 4-byte Folded Spill
	buffer_store_dword v8, off, s[60:63], 0 offset:576 ; 4-byte Folded Spill
	s_nop 0
	buffer_store_dword v9, off, s[60:63], 0 offset:580 ; 4-byte Folded Spill
	v_fma_f64 v[0:1], v[136:137], s[22:23], v[14:15]
	v_add_f64 v[0:1], v[0:1], v[12:13]
	v_fma_f64 v[2:3], v[112:113], s[6:7], -v[2:3]
	v_fma_f64 v[12:13], v[138:139], s[22:23], -v[8:9]
	v_mul_f64 v[8:9], v[235:236], s[46:47]
	buffer_store_dword v8, off, s[60:63], 0 offset:552 ; 4-byte Folded Spill
	s_nop 0
	buffer_store_dword v9, off, s[60:63], 0 offset:556 ; 4-byte Folded Spill
	v_add_f64 v[2:3], v[22:23], v[2:3]
	v_add_f64 v[2:3], v[12:13], v[2:3]
	v_fma_f64 v[12:13], v[148:149], s[10:11], v[8:9]
	v_mul_f64 v[8:9], v[233:234], s[46:47]
	buffer_store_dword v8, off, s[60:63], 0 offset:600 ; 4-byte Folded Spill
	s_nop 0
	buffer_store_dword v9, off, s[60:63], 0 offset:604 ; 4-byte Folded Spill
	v_add_f64 v[0:1], v[12:13], v[0:1]
	v_fma_f64 v[12:13], v[152:153], s[10:11], -v[8:9]
	v_mul_f64 v[8:9], v[241:242], s[54:55]
	buffer_store_dword v8, off, s[60:63], 0 offset:544 ; 4-byte Folded Spill
	s_nop 0
	buffer_store_dword v9, off, s[60:63], 0 offset:548 ; 4-byte Folded Spill
	v_add_f64 v[2:3], v[12:13], v[2:3]
	v_fma_f64 v[12:13], v[164:165], s[0:1], v[8:9]
	v_mul_f64 v[8:9], v[237:238], s[54:55]
	buffer_store_dword v8, off, s[60:63], 0 offset:592 ; 4-byte Folded Spill
	s_nop 0
	buffer_store_dword v9, off, s[60:63], 0 offset:596 ; 4-byte Folded Spill
	v_add_f64 v[0:1], v[12:13], v[0:1]
	v_fma_f64 v[12:13], v[166:167], s[0:1], -v[8:9]
	v_mul_f64 v[8:9], v[245:246], s[30:31]
	buffer_store_dword v8, off, s[60:63], 0 offset:560 ; 4-byte Folded Spill
	s_nop 0
	buffer_store_dword v9, off, s[60:63], 0 offset:564 ; 4-byte Folded Spill
	;; [unrolled: 12-line block ×5, first 2 shown]
	v_add_f64 v[2:3], v[12:13], v[2:3]
	v_fma_f64 v[12:13], v[221:222], s[18:19], v[8:9]
	v_add_f64 v[8:9], v[12:13], v[0:1]
	v_mul_f64 v[0:1], v[158:159], s[52:53]
	buffer_store_dword v0, off, s[60:63], 0 offset:632 ; 4-byte Folded Spill
	s_nop 0
	buffer_store_dword v1, off, s[60:63], 0 offset:636 ; 4-byte Folded Spill
	v_mov_b32_e32 v12, v16
	v_mov_b32_e32 v13, v17
	;; [unrolled: 1-line block ×4, first 2 shown]
	v_fma_f64 v[16:17], v[138:139], s[16:17], -v[156:157]
	v_fma_f64 v[0:1], v[223:224], s[18:19], -v[0:1]
	v_add_f64 v[10:11], v[0:1], v[2:3]
	v_mul_f64 v[0:1], v[187:188], s[36:37]
	buffer_store_dword v8, off, s[60:63], 0 offset:20 ; 4-byte Folded Spill
	s_nop 0
	buffer_store_dword v9, off, s[60:63], 0 offset:24 ; 4-byte Folded Spill
	buffer_store_dword v10, off, s[60:63], 0 offset:28 ; 4-byte Folded Spill
	;; [unrolled: 1-line block ×4, first 2 shown]
	s_nop 0
	buffer_store_dword v1, off, s[60:63], 0 offset:644 ; 4-byte Folded Spill
	v_mul_f64 v[2:3], v[227:228], s[48:49]
	buffer_store_dword v2, off, s[60:63], 0 offset:648 ; 4-byte Folded Spill
	s_nop 0
	buffer_store_dword v3, off, s[60:63], 0 offset:652 ; 4-byte Folded Spill
	v_mul_f64 v[8:9], v[235:236], s[52:53]
	buffer_store_dword v8, off, s[60:63], 0 offset:664 ; 4-byte Folded Spill
	s_nop 0
	buffer_store_dword v9, off, s[60:63], 0 offset:668 ; 4-byte Folded Spill
	v_fma_f64 v[0:1], v[110:111], s[10:11], v[0:1]
	v_add_f64 v[0:1], v[20:21], v[0:1]
	v_fma_f64 v[2:3], v[136:137], s[16:17], v[2:3]
	v_add_f64 v[0:1], v[2:3], v[0:1]
	v_fma_f64 v[2:3], v[112:113], s[10:11], -v[154:155]
	v_add_f64 v[2:3], v[22:23], v[2:3]
	v_add_f64 v[2:3], v[16:17], v[2:3]
	v_fma_f64 v[16:17], v[148:149], s[18:19], v[8:9]
	v_mul_f64 v[8:9], v[241:242], s[30:31]
	buffer_store_dword v8, off, s[60:63], 0 offset:656 ; 4-byte Folded Spill
	s_nop 0
	buffer_store_dword v9, off, s[60:63], 0 offset:660 ; 4-byte Folded Spill
	v_add_f64 v[0:1], v[16:17], v[0:1]
	v_fma_f64 v[16:17], v[152:153], s[18:19], -v[162:163]
	v_add_f64 v[2:3], v[16:17], v[2:3]
	v_fma_f64 v[16:17], v[164:165], s[2:3], v[8:9]
	v_mul_f64 v[8:9], v[245:246], s[42:43]
	buffer_store_dword v8, off, s[60:63], 0 offset:672 ; 4-byte Folded Spill
	s_nop 0
	buffer_store_dword v9, off, s[60:63], 0 offset:676 ; 4-byte Folded Spill
	v_add_f64 v[0:1], v[16:17], v[0:1]
	v_fma_f64 v[16:17], v[166:167], s[2:3], -v[160:161]
	;; [unrolled: 8-line block ×3, first 2 shown]
	v_add_f64 v[2:3], v[16:17], v[2:3]
	v_fma_f64 v[16:17], v[199:200], s[6:7], v[8:9]
	v_add_f64 v[0:1], v[16:17], v[0:1]
	v_fma_f64 v[16:17], v[203:204], s[6:7], -v[173:174]
	v_add_f64 v[2:3], v[16:17], v[2:3]
	v_fma_f64 v[16:17], v[205:206], s[0:1], v[146:147]
	v_add_f64 v[0:1], v[16:17], v[0:1]
	v_fma_f64 v[16:17], v[211:212], s[0:1], -v[175:176]
	;; [unrolled: 4-line block ×3, first 2 shown]
	v_mov_b32_e32 v19, v7
	v_mov_b32_e32 v18, v6
	;; [unrolled: 1-line block ×4, first 2 shown]
	v_add_f64 v[10:11], v[0:1], v[2:3]
	v_fma_f64 v[0:1], v[110:111], s[20:21], v[181:182]
	v_fma_f64 v[2:3], v[136:137], s[10:11], v[189:190]
	buffer_store_dword v8, off, s[60:63], 0 offset:36 ; 4-byte Folded Spill
	s_nop 0
	buffer_store_dword v9, off, s[60:63], 0 offset:40 ; 4-byte Folded Spill
	buffer_store_dword v10, off, s[60:63], 0 offset:44 ; 4-byte Folded Spill
	;; [unrolled: 1-line block ×3, first 2 shown]
	v_add_f64 v[0:1], v[20:21], v[0:1]
	s_load_dwordx2 s[24:25], s[4:5], 0x20
	s_load_dwordx2 s[8:9], s[4:5], 0x8
	s_waitcnt vmcnt(0) lgkmcnt(0)
	s_barrier
	v_add_f64 v[0:1], v[2:3], v[0:1]
	v_fma_f64 v[2:3], v[112:113], s[20:21], -v[213:214]
	v_add_f64 v[2:3], v[22:23], v[2:3]
	v_add_f64 v[2:3], v[72:73], v[2:3]
	v_fma_f64 v[72:73], v[148:149], s[0:1], v[193:194]
	v_add_f64 v[0:1], v[72:73], v[0:1]
	v_fma_f64 v[72:73], v[152:153], s[0:1], -v[219:220]
	v_add_f64 v[2:3], v[72:73], v[2:3]
	v_fma_f64 v[72:73], v[164:165], s[16:17], v[191:192]
	v_add_f64 v[0:1], v[72:73], v[0:1]
	v_fma_f64 v[72:73], v[166:167], s[16:17], -v[217:218]
	;; [unrolled: 4-line block ×6, first 2 shown]
	v_fma_f64 v[72:73], v[138:139], s[2:3], -v[108:109]
	v_add_f64 v[82:83], v[0:1], v[2:3]
	v_fma_f64 v[0:1], v[110:111], s[16:17], v[247:248]
	v_fma_f64 v[2:3], v[136:137], s[2:3], v[249:250]
	v_add_f64 v[0:1], v[20:21], v[0:1]
	v_add_f64 v[0:1], v[2:3], v[0:1]
	v_fma_f64 v[2:3], v[112:113], s[16:17], -v[106:107]
	v_add_f64 v[2:3], v[22:23], v[2:3]
	v_add_f64 v[2:3], v[72:73], v[2:3]
	v_fma_f64 v[72:73], v[148:149], s[6:7], v[253:254]
	v_add_f64 v[0:1], v[72:73], v[0:1]
	v_fma_f64 v[72:73], v[152:153], s[6:7], -v[118:119]
	v_add_f64 v[2:3], v[72:73], v[2:3]
	v_fma_f64 v[72:73], v[164:165], s[20:21], v[251:252]
	v_add_f64 v[0:1], v[72:73], v[0:1]
	v_fma_f64 v[72:73], v[166:167], s[20:21], -v[116:117]
	v_add_f64 v[2:3], v[72:73], v[2:3]
	v_fma_f64 v[72:73], v[183:184], s[0:1], v[96:97]
	v_add_f64 v[0:1], v[72:73], v[0:1]
	v_fma_f64 v[72:73], v[185:186], s[0:1], -v[120:121]
	v_add_f64 v[2:3], v[72:73], v[2:3]
	v_fma_f64 v[72:73], v[199:200], s[22:23], v[98:99]
	v_add_f64 v[0:1], v[72:73], v[0:1]
	v_fma_f64 v[72:73], v[203:204], s[22:23], -v[122:123]
	v_add_f64 v[2:3], v[72:73], v[2:3]
	v_fma_f64 v[72:73], v[205:206], s[18:19], v[102:103]
	v_add_f64 v[0:1], v[72:73], v[0:1]
	v_fma_f64 v[72:73], v[211:212], s[18:19], -v[124:125]
	v_add_f64 v[2:3], v[72:73], v[2:3]
	v_fma_f64 v[72:73], v[221:222], s[10:11], v[104:105]
	v_add_f64 v[72:73], v[72:73], v[0:1]
	v_fma_f64 v[0:1], v[223:224], s[10:11], -v[130:131]
	v_add_f64 v[74:75], v[0:1], v[2:3]
	buffer_load_dword v0, off, s[60:63], 0  ; 4-byte Folded Reload
	s_waitcnt vmcnt(0)
	v_mul_lo_u16_e32 v0, 17, v0
	buffer_store_dword v0, off, s[60:63], 0 offset:68 ; 4-byte Folded Spill
	s_and_saveexec_b64 s[4:5], vcc
	s_cbranch_execz .LBB0_7
; %bb.6:
	v_add_f64 v[0:1], v[22:23], v[86:87]
	v_add_f64 v[2:3], v[20:21], v[84:85]
	v_mul_f64 v[235:236], v[235:236], s[40:41]
	buffer_store_dword v132, off, s[60:63], 0 offset:688 ; 4-byte Folded Spill
	s_nop 0
	buffer_store_dword v133, off, s[60:63], 0 offset:692 ; 4-byte Folded Spill
	v_mul_f64 v[132:133], v[166:167], s[18:19]
	v_mul_f64 v[241:242], v[241:242], s[52:53]
	v_mov_b32_e32 v6, v134
	v_mov_b32_e32 v7, v135
	v_add_f64 v[0:1], v[0:1], v[90:91]
	v_add_f64 v[2:3], v[2:3], v[88:89]
	v_mul_f64 v[134:135], v[185:186], s[20:21]
	v_mul_f64 v[245:246], v[245:246], s[38:39]
	v_mov_b32_e32 v8, v140
	v_mov_b32_e32 v9, v141
	v_mul_f64 v[140:141], v[203:204], s[2:3]
	v_mul_f64 v[114:115], v[114:115], s[44:45]
	v_add_f64 v[88:89], v[0:1], v[94:95]
	v_mul_f64 v[0:1], v[112:113], s[22:23]
	v_add_f64 v[90:91], v[2:3], v[92:93]
	v_mul_f64 v[92:93], v[138:139], s[0:1]
	v_mul_f64 v[94:95], v[187:188], s[42:43]
	;; [unrolled: 1-line block ×4, first 2 shown]
	v_mov_b32_e32 v10, v142
	v_mov_b32_e32 v11, v143
	v_fma_f64 v[2:3], v[169:170], s[50:51], v[0:1]
	v_mul_f64 v[142:143], v[211:212], s[10:11]
	v_fma_f64 v[84:85], v[209:210], s[26:27], v[92:93]
	v_mul_f64 v[128:129], v[128:129], s[36:37]
	v_fma_f64 v[86:87], v[136:137], s[0:1], v[187:188]
	v_mov_b32_e32 v4, v144
	v_mov_b32_e32 v5, v145
	v_mul_f64 v[144:145], v[223:224], s[6:7]
	v_add_f64 v[2:3], v[22:23], v[2:3]
	v_mul_f64 v[177:178], v[177:178], s[58:59]
	v_fma_f64 v[0:1], v[169:170], s[42:43], v[0:1]
	v_fma_f64 v[92:93], v[209:210], s[54:55], v[92:93]
	v_add_f64 v[88:89], v[88:89], v[78:79]
	v_mul_f64 v[78:79], v[112:113], s[16:17]
	v_add_f64 v[90:91], v[90:91], v[76:77]
	v_mul_f64 v[76:77], v[152:153], s[6:7]
	v_add_f64 v[2:3], v[84:85], v[2:3]
	v_fma_f64 v[84:85], v[110:111], s[22:23], v[94:95]
	v_add_f64 v[0:1], v[22:23], v[0:1]
	v_mul_f64 v[169:170], v[203:204], s[10:11]
	v_add_f64 v[70:71], v[88:89], v[70:71]
	v_add_f64 v[78:79], v[106:107], v[78:79]
	;; [unrolled: 1-line block ×4, first 2 shown]
	v_mul_f64 v[90:91], v[112:113], s[20:21]
	v_add_f64 v[84:85], v[20:21], v[84:85]
	v_add_f64 v[0:1], v[92:93], v[0:1]
	v_fma_f64 v[92:93], v[237:238], s[52:53], v[132:133]
	v_mul_f64 v[68:69], v[152:153], s[0:1]
	v_add_f64 v[78:79], v[22:23], v[78:79]
	v_add_f64 v[34:35], v[70:71], v[34:35]
	;; [unrolled: 1-line block ×5, first 2 shown]
	v_fma_f64 v[86:87], v[233:234], s[48:49], v[227:228]
	v_add_f64 v[68:69], v[219:220], v[68:69]
	v_add_f64 v[26:27], v[34:35], v[26:27]
	;; [unrolled: 1-line block ×5, first 2 shown]
	v_fma_f64 v[86:87], v[148:149], s[16:17], v[235:236]
	v_add_f64 v[26:27], v[26:27], v[30:31]
	v_add_f64 v[24:25], v[24:25], v[28:29]
	v_add_f64 v[84:85], v[86:87], v[84:85]
	v_fma_f64 v[86:87], v[237:238], s[28:29], v[132:133]
	v_add_f64 v[26:27], v[26:27], v[38:39]
	v_add_f64 v[24:25], v[24:25], v[36:37]
	v_add_f64 v[2:3], v[86:87], v[2:3]
	v_fma_f64 v[86:87], v[164:165], s[18:19], v[241:242]
	v_add_f64 v[26:27], v[26:27], v[42:43]
	v_add_f64 v[24:25], v[24:25], v[40:41]
	v_add_f64 v[84:85], v[86:87], v[84:85]
	v_fma_f64 v[86:87], v[243:244], s[56:57], v[134:135]
	v_add_f64 v[24:25], v[24:25], v[44:45]
	v_add_f64 v[26:27], v[26:27], v[46:47]
	v_add_f64 v[2:3], v[86:87], v[2:3]
	v_fma_f64 v[86:87], v[183:184], s[20:21], v[245:246]
	v_add_f64 v[26:27], v[26:27], v[50:51]
	v_add_f64 v[24:25], v[24:25], v[48:49]
	v_add_f64 v[84:85], v[86:87], v[84:85]
	v_fma_f64 v[86:87], v[100:101], s[30:31], v[140:141]
	v_add_f64 v[26:27], v[26:27], v[54:55]
	v_add_f64 v[24:25], v[24:25], v[52:53]
	v_add_f64 v[2:3], v[86:87], v[2:3]
	v_fma_f64 v[86:87], v[199:200], s[2:3], v[114:115]
	v_add_f64 v[26:27], v[26:27], v[58:59]
	v_add_f64 v[24:25], v[24:25], v[56:57]
	v_add_f64 v[84:85], v[86:87], v[84:85]
	v_fma_f64 v[86:87], v[126:127], s[46:47], v[142:143]
	v_add_f64 v[46:47], v[26:27], v[62:63]
	v_add_f64 v[24:25], v[24:25], v[60:61]
	v_add_f64 v[2:3], v[86:87], v[2:3]
	v_fma_f64 v[86:87], v[205:206], s[10:11], v[128:129]
	v_add_f64 v[84:85], v[86:87], v[84:85]
	v_fma_f64 v[86:87], v[158:159], s[34:35], v[144:145]
	v_add_f64 v[86:87], v[86:87], v[2:3]
	;; [unrolled: 2-line block ×5, first 2 shown]
	v_fma_f64 v[92:93], v[100:101], s[44:45], v[140:141]
	v_fma_f64 v[100:101], v[126:127], s[36:37], v[142:143]
	v_add_f64 v[0:1], v[2:3], v[0:1]
	v_fma_f64 v[2:3], v[158:159], s[58:59], v[144:145]
	v_add_f64 v[0:1], v[92:93], v[0:1]
	v_fma_f64 v[92:93], v[110:111], s[22:23], -v[94:95]
	v_fma_f64 v[94:95], v[136:137], s[0:1], -v[187:188]
	v_add_f64 v[0:1], v[100:101], v[0:1]
	v_add_f64 v[92:93], v[20:21], v[92:93]
	v_mul_f64 v[100:101], v[136:137], s[2:3]
	v_add_f64 v[2:3], v[2:3], v[0:1]
	v_add_f64 v[92:93], v[94:95], v[92:93]
	v_fma_f64 v[94:95], v[148:149], s[16:17], -v[235:236]
	v_add_f64 v[100:101], v[100:101], -v[249:250]
	v_add_f64 v[92:93], v[94:95], v[92:93]
	v_fma_f64 v[94:95], v[164:165], s[18:19], -v[241:242]
	v_add_f64 v[92:93], v[94:95], v[92:93]
	v_fma_f64 v[94:95], v[183:184], s[20:21], -v[245:246]
	;; [unrolled: 2-line block ×5, first 2 shown]
	v_mul_f64 v[177:178], v[205:206], s[6:7]
	v_add_f64 v[0:1], v[94:95], v[92:93]
	v_mul_f64 v[92:93], v[138:139], s[2:3]
	v_mul_f64 v[94:95], v[110:111], s[16:17]
	v_add_f64 v[92:93], v[108:109], v[92:93]
	v_add_f64 v[94:95], v[94:95], -v[247:248]
	v_add_f64 v[78:79], v[92:93], v[78:79]
	v_mul_f64 v[92:93], v[166:167], s[20:21]
	v_add_f64 v[94:95], v[20:21], v[94:95]
	v_add_f64 v[76:77], v[76:77], v[78:79]
	;; [unrolled: 1-line block ×3, first 2 shown]
	v_mul_f64 v[78:79], v[185:186], s[0:1]
	v_add_f64 v[94:95], v[100:101], v[94:95]
	v_mul_f64 v[100:101], v[164:165], s[20:21]
	v_add_f64 v[76:77], v[92:93], v[76:77]
	v_add_f64 v[78:79], v[120:121], v[78:79]
	v_mul_f64 v[92:93], v[203:204], s[22:23]
	v_add_f64 v[100:101], v[100:101], -v[251:252]
	v_add_f64 v[76:77], v[78:79], v[76:77]
	v_add_f64 v[92:93], v[122:123], v[92:93]
	v_mul_f64 v[78:79], v[211:212], s[18:19]
	v_add_f64 v[76:77], v[92:93], v[76:77]
	v_add_f64 v[78:79], v[124:125], v[78:79]
	v_mul_f64 v[92:93], v[223:224], s[10:11]
	v_add_f64 v[76:77], v[78:79], v[76:77]
	v_mul_f64 v[78:79], v[148:149], s[6:7]
	v_add_f64 v[92:93], v[130:131], v[92:93]
	v_add_f64 v[78:79], v[78:79], -v[253:254]
	v_add_f64 v[78:79], v[78:79], v[94:95]
	v_mul_f64 v[94:95], v[183:184], s[0:1]
	v_add_f64 v[78:79], v[100:101], v[78:79]
	v_add_f64 v[94:95], v[94:95], -v[96:97]
	v_mul_f64 v[96:97], v[199:200], s[22:23]
	v_mul_f64 v[100:101], v[138:139], s[16:17]
	v_add_f64 v[78:79], v[94:95], v[78:79]
	v_add_f64 v[96:97], v[96:97], -v[98:99]
	v_mul_f64 v[94:95], v[205:206], s[18:19]
	v_add_f64 v[100:101], v[156:157], v[100:101]
	v_mul_f64 v[156:157], v[166:167], s[22:23]
	v_add_f64 v[78:79], v[96:97], v[78:79]
	v_add_f64 v[94:95], v[94:95], -v[102:103]
	v_mul_f64 v[96:97], v[221:222], s[10:11]
	buffer_load_dword v102, off, s[60:63], 0 offset:664 ; 4-byte Folded Reload
	buffer_load_dword v103, off, s[60:63], 0 offset:668 ; 4-byte Folded Reload
	v_add_f64 v[94:95], v[94:95], v[78:79]
	v_add_f64 v[78:79], v[92:93], v[76:77]
	v_mul_f64 v[92:93], v[138:139], s[10:11]
	v_add_f64 v[96:97], v[96:97], -v[104:105]
	buffer_load_dword v104, off, s[60:63], 0 offset:640 ; 4-byte Folded Reload
	buffer_load_dword v105, off, s[60:63], 0 offset:644 ; 4-byte Folded Reload
	;; [unrolled: 1-line block ×4, first 2 shown]
	v_add_f64 v[92:93], v[215:216], v[92:93]
	v_add_f64 v[76:77], v[96:97], v[94:95]
	v_mul_f64 v[94:95], v[110:111], s[20:21]
	v_mul_f64 v[96:97], v[136:137], s[10:11]
	v_add_f64 v[90:91], v[92:93], v[90:91]
	v_mul_f64 v[92:93], v[166:167], s[16:17]
	v_add_f64 v[94:95], v[94:95], -v[181:182]
	v_add_f64 v[96:97], v[96:97], -v[189:190]
	v_add_f64 v[68:69], v[68:69], v[90:91]
	v_add_f64 v[92:93], v[217:218], v[92:93]
	v_mul_f64 v[90:91], v[185:186], s[6:7]
	v_add_f64 v[94:95], v[20:21], v[94:95]
	v_add_f64 v[68:69], v[92:93], v[68:69]
	;; [unrolled: 1-line block ×3, first 2 shown]
	v_mul_f64 v[92:93], v[203:204], s[18:19]
	v_add_f64 v[94:95], v[96:97], v[94:95]
	v_mul_f64 v[96:97], v[164:165], s[16:17]
	v_add_f64 v[68:69], v[90:91], v[68:69]
	v_add_f64 v[92:93], v[229:230], v[92:93]
	v_mul_f64 v[90:91], v[211:212], s[22:23]
	v_add_f64 v[96:97], v[96:97], -v[191:192]
	v_add_f64 v[68:69], v[92:93], v[68:69]
	v_add_f64 v[90:91], v[231:232], v[90:91]
	v_mul_f64 v[92:93], v[223:224], s[2:3]
	v_add_f64 v[68:69], v[90:91], v[68:69]
	v_mul_f64 v[90:91], v[148:149], s[0:1]
	v_add_f64 v[92:93], v[239:240], v[92:93]
	v_add_f64 v[90:91], v[90:91], -v[193:194]
	v_add_f64 v[68:69], v[92:93], v[68:69]
	v_add_f64 v[90:91], v[90:91], v[94:95]
	v_mul_f64 v[94:95], v[183:184], s[6:7]
	v_add_f64 v[90:91], v[96:97], v[90:91]
	v_add_f64 v[94:95], v[94:95], -v[195:196]
	v_mul_f64 v[96:97], v[199:200], s[18:19]
	v_add_f64 v[90:91], v[94:95], v[90:91]
	v_add_f64 v[96:97], v[96:97], -v[197:198]
	;; [unrolled: 3-line block ×3, first 2 shown]
	v_mul_f64 v[96:97], v[221:222], s[2:3]
	v_add_f64 v[98:99], v[94:95], v[90:91]
	v_mul_f64 v[94:95], v[112:113], s[10:11]
	v_mul_f64 v[90:91], v[152:153], s[18:19]
	v_add_f64 v[96:97], v[96:97], -v[207:208]
	v_add_f64 v[94:95], v[154:155], v[94:95]
	v_add_f64 v[90:91], v[162:163], v[90:91]
	v_mul_f64 v[154:155], v[164:165], s[22:23]
	v_mul_f64 v[162:163], v[183:184], s[16:17]
	v_add_f64 v[94:95], v[22:23], v[94:95]
	v_add_f64 v[94:95], v[100:101], v[94:95]
	v_mul_f64 v[100:101], v[166:167], s[2:3]
	v_add_f64 v[90:91], v[90:91], v[94:95]
	v_add_f64 v[100:101], v[160:161], v[100:101]
	;; [unrolled: 3-line block ×3, first 2 shown]
	v_mul_f64 v[100:101], v[203:204], s[6:7]
	v_mul_f64 v[171:172], v[199:200], s[0:1]
	v_add_f64 v[90:91], v[94:95], v[90:91]
	v_add_f64 v[100:101], v[173:174], v[100:101]
	v_mul_f64 v[94:95], v[211:212], s[0:1]
	v_add_f64 v[90:91], v[100:101], v[90:91]
	v_add_f64 v[94:95], v[175:176], v[94:95]
	v_mul_f64 v[100:101], v[223:224], s[20:21]
	v_mul_f64 v[175:176], v[211:212], s[2:3]
	v_add_f64 v[90:91], v[94:95], v[90:91]
	v_mul_f64 v[94:95], v[148:149], s[18:19]
	v_add_f64 v[100:101], v[179:180], v[100:101]
	s_waitcnt vmcnt(4)
	v_add_f64 v[94:95], v[94:95], -v[102:103]
	v_mul_f64 v[102:103], v[110:111], s[10:11]
	v_add_f64 v[90:91], v[100:101], v[90:91]
	s_waitcnt vmcnt(2)
	v_add_f64 v[102:103], v[102:103], -v[104:105]
	;; [unrolled: 4-line block ×3, first 2 shown]
	buffer_load_dword v106, off, s[60:63], 0 offset:656 ; 4-byte Folded Reload
	buffer_load_dword v107, off, s[60:63], 0 offset:660 ; 4-byte Folded Reload
	v_add_f64 v[102:103], v[104:105], v[102:103]
	v_mul_f64 v[104:105], v[164:165], s[2:3]
	v_add_f64 v[94:95], v[94:95], v[102:103]
	v_mul_f64 v[102:103], v[183:184], s[22:23]
	s_waitcnt vmcnt(0)
	v_add_f64 v[104:105], v[104:105], -v[106:107]
	buffer_load_dword v106, off, s[60:63], 0 offset:672 ; 4-byte Folded Reload
	buffer_load_dword v107, off, s[60:63], 0 offset:676 ; 4-byte Folded Reload
	v_add_f64 v[94:95], v[104:105], v[94:95]
	v_mul_f64 v[104:105], v[199:200], s[6:7]
	s_waitcnt vmcnt(0)
	v_add_f64 v[102:103], v[102:103], -v[106:107]
	buffer_load_dword v106, off, s[60:63], 0 offset:680 ; 4-byte Folded Reload
	buffer_load_dword v107, off, s[60:63], 0 offset:684 ; 4-byte Folded Reload
	v_add_f64 v[94:95], v[102:103], v[94:95]
	v_mul_f64 v[102:103], v[205:206], s[0:1]
	v_add_f64 v[102:103], v[102:103], -v[146:147]
	v_mul_f64 v[146:147], v[152:153], s[20:21]
	s_waitcnt vmcnt(0)
	v_add_f64 v[104:105], v[104:105], -v[106:107]
	buffer_load_dword v106, off, s[60:63], 0 offset:600 ; 4-byte Folded Reload
	buffer_load_dword v107, off, s[60:63], 0 offset:604 ; 4-byte Folded Reload
	;; [unrolled: 1-line block ×6, first 2 shown]
	v_add_f64 v[94:95], v[104:105], v[94:95]
	v_mul_f64 v[104:105], v[221:222], s[20:21]
	v_add_f64 v[102:103], v[102:103], v[94:95]
	v_mul_f64 v[94:95], v[152:153], s[10:11]
	v_add_f64 v[104:105], v[104:105], -v[150:151]
	s_waitcnt vmcnt(4)
	v_add_f64 v[94:95], v[106:107], v[94:95]
	v_mul_f64 v[106:107], v[112:113], s[6:7]
	s_waitcnt vmcnt(2)
	v_add_f64 v[106:107], v[108:109], v[106:107]
	v_mul_f64 v[108:109], v[138:139], s[22:23]
	v_add_f64 v[106:107], v[22:23], v[106:107]
	s_waitcnt vmcnt(0)
	v_add_f64 v[108:109], v[114:115], v[108:109]
	buffer_load_dword v114, off, s[60:63], 0 offset:592 ; 4-byte Folded Reload
	buffer_load_dword v115, off, s[60:63], 0 offset:596 ; 4-byte Folded Reload
	v_add_f64 v[106:107], v[108:109], v[106:107]
	v_mul_f64 v[108:109], v[166:167], s[0:1]
	v_add_f64 v[94:95], v[94:95], v[106:107]
	v_mul_f64 v[106:107], v[185:186], s[2:3]
	s_waitcnt vmcnt(0)
	v_add_f64 v[108:109], v[114:115], v[108:109]
	buffer_load_dword v114, off, s[60:63], 0 offset:608 ; 4-byte Folded Reload
	buffer_load_dword v115, off, s[60:63], 0 offset:612 ; 4-byte Folded Reload
	v_add_f64 v[94:95], v[108:109], v[94:95]
	v_mul_f64 v[108:109], v[203:204], s[16:17]
	s_waitcnt vmcnt(0)
	v_add_f64 v[106:107], v[114:115], v[106:107]
	buffer_load_dword v114, off, s[60:63], 0 offset:616 ; 4-byte Folded Reload
	buffer_load_dword v115, off, s[60:63], 0 offset:620 ; 4-byte Folded Reload
	;; [unrolled: 6-line block ×5, first 2 shown]
	buffer_load_dword v116, off, s[60:63], 0 offset:552 ; 4-byte Folded Reload
	buffer_load_dword v117, off, s[60:63], 0 offset:556 ; 4-byte Folded Reload
	;; [unrolled: 1-line block ×6, first 2 shown]
	v_add_f64 v[94:95], v[108:109], v[94:95]
	s_waitcnt vmcnt(6)
	v_add_f64 v[106:107], v[106:107], -v[114:115]
	v_mul_f64 v[114:115], v[148:149], s[10:11]
	s_waitcnt vmcnt(4)
	v_add_f64 v[114:115], v[114:115], -v[116:117]
	v_mul_f64 v[116:117], v[110:111], s[6:7]
	;; [unrolled: 3-line block ×3, first 2 shown]
	v_add_f64 v[116:117], v[20:21], v[116:117]
	s_waitcnt vmcnt(0)
	v_add_f64 v[118:119], v[118:119], -v[120:121]
	buffer_load_dword v120, off, s[60:63], 0 offset:544 ; 4-byte Folded Reload
	buffer_load_dword v121, off, s[60:63], 0 offset:548 ; 4-byte Folded Reload
	v_add_f64 v[116:117], v[118:119], v[116:117]
	v_mul_f64 v[118:119], v[164:165], s[0:1]
	v_add_f64 v[114:115], v[114:115], v[116:117]
	v_mul_f64 v[116:117], v[183:184], s[2:3]
	s_waitcnt vmcnt(0)
	v_add_f64 v[118:119], v[118:119], -v[120:121]
	buffer_load_dword v120, off, s[60:63], 0 offset:560 ; 4-byte Folded Reload
	buffer_load_dword v121, off, s[60:63], 0 offset:564 ; 4-byte Folded Reload
	v_add_f64 v[114:115], v[118:119], v[114:115]
	v_mul_f64 v[118:119], v[152:153], s[22:23]
	s_waitcnt vmcnt(0)
	v_add_f64 v[116:117], v[116:117], -v[120:121]
	buffer_load_dword v120, off, s[60:63], 0 offset:376 ; 4-byte Folded Reload
	buffer_load_dword v121, off, s[60:63], 0 offset:380 ; 4-byte Folded Reload
	buffer_load_dword v122, off, s[60:63], 0 offset:144 ; 4-byte Folded Reload
	buffer_load_dword v123, off, s[60:63], 0 offset:148 ; 4-byte Folded Reload
	buffer_load_dword v124, off, s[60:63], 0 offset:296 ; 4-byte Folded Reload
	buffer_load_dword v125, off, s[60:63], 0 offset:300 ; 4-byte Folded Reload
	v_add_f64 v[114:115], v[116:117], v[114:115]
	v_mul_f64 v[116:117], v[110:111], s[0:1]
	v_add_f64 v[106:107], v[106:107], v[114:115]
	v_mul_f64 v[114:115], v[110:111], s[18:19]
	v_mul_f64 v[110:111], v[110:111], s[2:3]
	v_add_f64 v[30:31], v[114:115], -v[8:9]
	s_waitcnt vmcnt(4)
	v_add_f64 v[118:119], v[120:121], v[118:119]
	v_mul_f64 v[120:121], v[112:113], s[2:3]
	s_waitcnt vmcnt(2)
	v_add_f64 v[120:121], v[122:123], v[120:121]
	v_mul_f64 v[122:123], v[138:139], s[20:21]
	v_add_f64 v[120:121], v[22:23], v[120:121]
	s_waitcnt vmcnt(0)
	v_add_f64 v[122:123], v[124:125], v[122:123]
	buffer_load_dword v124, off, s[60:63], 0 offset:432 ; 4-byte Folded Reload
	buffer_load_dword v125, off, s[60:63], 0 offset:436 ; 4-byte Folded Reload
	;; [unrolled: 1-line block ×16, first 2 shown]
	v_add_f64 v[120:121], v[122:123], v[120:121]
	v_mul_f64 v[122:123], v[166:167], s[10:11]
	buffer_load_dword v144, off, s[60:63], 0 offset:104 ; 4-byte Folded Reload
	buffer_load_dword v145, off, s[60:63], 0 offset:108 ; 4-byte Folded Reload
	;; [unrolled: 1-line block ×4, first 2 shown]
	v_add_f64 v[118:119], v[118:119], v[120:121]
	v_mul_f64 v[120:121], v[185:186], s[18:19]
	s_waitcnt vmcnt(18)
	v_add_f64 v[122:123], v[124:125], v[122:123]
	v_mul_f64 v[124:125], v[205:206], s[20:21]
	s_waitcnt vmcnt(14)
	v_add_f64 v[120:121], v[128:129], v[120:121]
	v_mul_f64 v[128:129], v[112:113], s[0:1]
	v_mul_f64 v[112:113], v[112:113], s[18:19]
	v_add_f64 v[118:119], v[122:123], v[118:119]
	v_add_f64 v[124:125], v[124:125], -v[126:127]
	v_mul_f64 v[126:127], v[203:204], s[0:1]
	v_mul_f64 v[122:123], v[221:222], s[18:19]
	s_waitcnt vmcnt(2)
	v_add_f64 v[110:111], v[110:111], -v[144:145]
	v_mul_f64 v[144:145], v[148:149], s[20:21]
	v_add_f64 v[118:119], v[120:121], v[118:119]
	v_add_f64 v[106:107], v[124:125], v[106:107]
	v_mul_f64 v[124:125], v[164:165], s[10:11]
	v_add_f64 v[126:127], v[130:131], v[126:127]
	v_mul_f64 v[120:121], v[136:137], s[18:19]
	v_add_f64 v[122:123], v[122:123], -v[132:133]
	v_mul_f64 v[132:133], v[183:184], s[18:19]
	v_add_f64 v[110:111], v[20:21], v[110:111]
	v_mul_f64 v[130:131], v[211:212], s[6:7]
	v_add_f64 v[124:125], v[124:125], -v[142:143]
	v_mul_f64 v[142:143], v[152:153], s[2:3]
	buffer_load_dword v152, off, s[60:63], 0 offset:88 ; 4-byte Folded Reload
	buffer_load_dword v153, off, s[60:63], 0 offset:92 ; 4-byte Folded Reload
	buffer_load_dword v158, off, s[60:63], 0 offset:312 ; 4-byte Folded Reload
	buffer_load_dword v159, off, s[60:63], 0 offset:316 ; 4-byte Folded Reload
	v_add_f64 v[118:119], v[126:127], v[118:119]
	v_mul_f64 v[126:127], v[136:137], s[6:7]
	v_mul_f64 v[136:137], v[136:137], s[20:21]
	v_add_f64 v[132:133], v[132:133], -v[140:141]
	v_mul_f64 v[140:141], v[148:149], s[2:3]
	v_mul_f64 v[148:149], v[148:149], s[22:23]
	buffer_load_dword v160, off, s[60:63], 0 offset:152 ; 4-byte Folded Reload
	buffer_load_dword v161, off, s[60:63], 0 offset:156 ; 4-byte Folded Reload
	v_add_f64 v[130:131], v[134:135], v[130:131]
	v_mul_f64 v[134:135], v[138:139], s[18:19]
	v_mul_f64 v[138:139], v[138:139], s[6:7]
	s_waitcnt vmcnt(6)
	v_add_f64 v[136:137], v[136:137], -v[150:151]
	v_mul_f64 v[150:151], v[164:165], s[6:7]
	v_mul_f64 v[164:165], v[185:186], s[16:17]
	v_add_f64 v[108:109], v[130:131], v[118:119]
	v_add_f64 v[114:115], v[4:5], v[134:135]
	;; [unrolled: 1-line block ×3, first 2 shown]
	v_mul_f64 v[136:137], v[199:200], s[20:21]
	s_waitcnt vmcnt(4)
	v_add_f64 v[112:113], v[152:153], v[112:113]
	v_mul_f64 v[152:153], v[166:167], s[6:7]
	s_waitcnt vmcnt(2)
	v_add_f64 v[148:149], v[148:149], -v[158:159]
	buffer_load_dword v166, off, s[60:63], 0 offset:232 ; 4-byte Folded Reload
	buffer_load_dword v167, off, s[60:63], 0 offset:236 ; 4-byte Folded Reload
	;; [unrolled: 1-line block ×12, first 2 shown]
	s_waitcnt vmcnt(12)
	v_add_f64 v[138:139], v[160:161], v[138:139]
	v_add_f64 v[110:111], v[148:149], v[110:111]
	;; [unrolled: 1-line block ×3, first 2 shown]
	v_mul_f64 v[160:161], v[185:186], s[10:11]
	v_mul_f64 v[185:186], v[221:222], s[16:17]
	;; [unrolled: 1-line block ×5, first 2 shown]
	v_add_f64 v[110:111], v[124:125], v[110:111]
	v_add_f64 v[112:113], v[138:139], v[112:113]
	v_mul_f64 v[138:139], v[199:200], s[10:11]
	v_mul_f64 v[124:125], v[221:222], s[22:23]
	v_add_f64 v[100:101], v[132:133], v[110:111]
	buffer_load_dword v110, off, s[60:63], 0 offset:448 ; 4-byte Folded Reload
	buffer_load_dword v111, off, s[60:63], 0 offset:452 ; 4-byte Folded Reload
	;; [unrolled: 1-line block ×4, first 2 shown]
	s_waitcnt vmcnt(14)
	v_add_f64 v[146:147], v[166:167], v[146:147]
	s_waitcnt vmcnt(12)
	v_add_f64 v[156:157], v[173:174], v[156:157]
	;; [unrolled: 2-line block ×4, first 2 shown]
	v_mul_f64 v[166:167], v[203:204], s[20:21]
	s_waitcnt vmcnt(4)
	v_add_f64 v[88:89], v[171:172], -v[88:89]
	v_mul_f64 v[173:174], v[211:212], s[16:17]
	v_mul_f64 v[179:180], v[223:224], s[22:23]
	v_add_f64 v[112:113], v[146:147], v[112:113]
	v_mul_f64 v[146:147], v[205:206], s[2:3]
	v_mul_f64 v[181:182], v[223:224], s[0:1]
	v_add_f64 v[70:71], v[70:71], v[183:184]
	v_add_f64 v[34:35], v[88:89], v[100:101]
	;; [unrolled: 1-line block ×4, first 2 shown]
	v_mul_f64 v[156:157], v[221:222], s[0:1]
	v_add_f64 v[22:23], v[22:23], v[100:101]
	v_add_f64 v[100:101], v[120:121], -v[10:11]
	v_add_f64 v[92:93], v[164:165], v[112:113]
	s_waitcnt vmcnt(0)
	v_add_f64 v[112:113], v[185:186], -v[32:33]
	buffer_load_dword v32, off, s[60:63], 0 offset:456 ; 4-byte Folded Reload
	buffer_load_dword v33, off, s[60:63], 0 offset:460 ; 4-byte Folded Reload
	;; [unrolled: 1-line block ×6, first 2 shown]
	v_add_f64 v[110:111], v[110:111], v[175:176]
	v_add_f64 v[22:23], v[114:115], v[22:23]
	;; [unrolled: 1-line block ×4, first 2 shown]
	s_waitcnt vmcnt(4)
	v_add_f64 v[32:33], v[177:178], -v[32:33]
	s_waitcnt vmcnt(2)
	v_add_f64 v[88:89], v[88:89], v[181:182]
	s_waitcnt vmcnt(0)
	v_add_f64 v[28:29], v[116:117], -v[6:7]
	buffer_load_dword v6, off, s[60:63], 0 offset:72 ; 4-byte Folded Reload
	buffer_load_dword v7, off, s[60:63], 0 offset:76 ; 4-byte Folded Reload
	;; [unrolled: 1-line block ×4, first 2 shown]
	v_add_f64 v[26:27], v[88:89], v[92:93]
	v_add_f64 v[28:29], v[20:21], v[28:29]
	;; [unrolled: 1-line block ×6, first 2 shown]
	s_waitcnt vmcnt(2)
	v_add_f64 v[110:111], v[126:127], -v[6:7]
	s_waitcnt vmcnt(0)
	v_add_f64 v[30:31], v[144:145], -v[4:5]
	buffer_load_dword v4, off, s[60:63], 0 offset:128 ; 4-byte Folded Reload
	buffer_load_dword v5, off, s[60:63], 0 offset:132 ; 4-byte Folded Reload
	v_add_f64 v[20:21], v[110:111], v[20:21]
	v_add_f64 v[20:21], v[30:31], v[20:21]
	s_waitcnt vmcnt(0)
	v_add_f64 v[36:37], v[4:5], v[142:143]
	buffer_load_dword v4, off, s[60:63], 0 offset:120 ; 4-byte Folded Reload
	buffer_load_dword v5, off, s[60:63], 0 offset:124 ; 4-byte Folded Reload
	v_add_f64 v[22:23], v[36:37], v[22:23]
	s_waitcnt vmcnt(0)
	v_add_f64 v[38:39], v[140:141], -v[4:5]
	buffer_load_dword v4, off, s[60:63], 0 offset:208 ; 4-byte Folded Reload
	buffer_load_dword v5, off, s[60:63], 0 offset:212 ; 4-byte Folded Reload
	v_add_f64 v[28:29], v[38:39], v[28:29]
	s_waitcnt vmcnt(0)
	v_add_f64 v[40:41], v[154:155], -v[4:5]
	buffer_load_dword v4, off, s[60:63], 0 offset:176 ; 4-byte Folded Reload
	buffer_load_dword v5, off, s[60:63], 0 offset:180 ; 4-byte Folded Reload
	v_add_f64 v[20:21], v[40:41], v[20:21]
	s_waitcnt vmcnt(0)
	v_add_f64 v[42:43], v[4:5], v[152:153]
	buffer_load_dword v4, off, s[60:63], 0 offset:160 ; 4-byte Folded Reload
	buffer_load_dword v5, off, s[60:63], 0 offset:164 ; 4-byte Folded Reload
	v_add_f64 v[22:23], v[42:43], v[22:23]
	s_waitcnt vmcnt(0)
	v_add_f64 v[36:37], v[150:151], -v[4:5]
	buffer_load_dword v4, off, s[60:63], 0 offset:280 ; 4-byte Folded Reload
	buffer_load_dword v5, off, s[60:63], 0 offset:284 ; 4-byte Folded Reload
	v_add_f64 v[28:29], v[36:37], v[28:29]
	s_waitcnt vmcnt(0)
	v_add_f64 v[30:31], v[162:163], -v[4:5]
	buffer_load_dword v4, off, s[60:63], 0 offset:264 ; 4-byte Folded Reload
	buffer_load_dword v5, off, s[60:63], 0 offset:268 ; 4-byte Folded Reload
	;; [unrolled: 15-line block ×4, first 2 shown]
	v_add_f64 v[20:21], v[30:31], v[20:21]
	s_waitcnt vmcnt(0)
	v_add_f64 v[42:43], v[4:5], v[173:174]
	buffer_load_dword v4, off, s[60:63], 0 offset:360 ; 4-byte Folded Reload
	buffer_load_dword v5, off, s[60:63], 0 offset:364 ; 4-byte Folded Reload
	v_add_f64 v[42:43], v[42:43], v[22:23]
	v_add_f64 v[22:23], v[70:71], v[108:109]
	s_waitcnt vmcnt(0)
	v_add_f64 v[40:41], v[148:149], -v[4:5]
	buffer_load_dword v4, off, s[60:63], 0 offset:440 ; 4-byte Folded Reload
	buffer_load_dword v5, off, s[60:63], 0 offset:444 ; 4-byte Folded Reload
	v_add_f64 v[28:29], v[40:41], v[28:29]
	v_add_f64 v[40:41], v[32:33], v[34:35]
	;; [unrolled: 1-line block ×5, first 2 shown]
	s_waitcnt vmcnt(0)
	v_add_f64 v[36:37], v[156:157], -v[4:5]
	buffer_load_dword v4, off, s[60:63], 0 offset:416 ; 4-byte Folded Reload
	buffer_load_dword v5, off, s[60:63], 0 offset:420 ; 4-byte Folded Reload
	v_add_f64 v[24:25], v[36:37], v[20:21]
	v_add_f64 v[20:21], v[112:113], v[40:41]
	s_waitcnt vmcnt(0)
	v_add_f64 v[38:39], v[4:5], v[179:180]
	buffer_load_dword v4, off, s[60:63], 0 offset:408 ; 4-byte Folded Reload
	buffer_load_dword v5, off, s[60:63], 0 offset:412 ; 4-byte Folded Reload
	v_add_f64 v[30:31], v[38:39], v[42:43]
	s_waitcnt vmcnt(0)
	v_add_f64 v[44:45], v[124:125], -v[4:5]
	buffer_load_dword v4, off, s[60:63], 0 offset:68 ; 4-byte Folded Reload
	v_add_f64 v[28:29], v[44:45], v[28:29]
	s_waitcnt vmcnt(0)
	v_add_lshl_u32 v4, v168, v4, 4
	ds_write_b128 v4, v[32:35]
	ds_write_b128 v4, v[28:31] offset:16
	ds_write_b128 v4, v[24:27] offset:32
	;; [unrolled: 1-line block ×11, first 2 shown]
	buffer_load_dword v0, off, s[60:63], 0 offset:36 ; 4-byte Folded Reload
	buffer_load_dword v1, off, s[60:63], 0 offset:40 ; 4-byte Folded Reload
	buffer_load_dword v2, off, s[60:63], 0 offset:44 ; 4-byte Folded Reload
	buffer_load_dword v3, off, s[60:63], 0 offset:48 ; 4-byte Folded Reload
	s_waitcnt vmcnt(0)
	ds_write_b128 v4, v[0:3] offset:192
	buffer_load_dword v0, off, s[60:63], 0 offset:20 ; 4-byte Folded Reload
	buffer_load_dword v1, off, s[60:63], 0 offset:24 ; 4-byte Folded Reload
	buffer_load_dword v2, off, s[60:63], 0 offset:28 ; 4-byte Folded Reload
	buffer_load_dword v3, off, s[60:63], 0 offset:32 ; 4-byte Folded Reload
	s_waitcnt vmcnt(0)
	ds_write_b128 v4, v[0:3] offset:208
	;; [unrolled: 6-line block ×3, first 2 shown]
	ds_write_b128 v4, v[16:19] offset:240
	ds_write_b128 v4, v[12:15] offset:256
.LBB0_7:
	s_or_b64 exec, exec, s[4:5]
	s_waitcnt vmcnt(0) lgkmcnt(0)
	s_barrier
	buffer_load_dword v187, off, s[60:63], 0 ; 4-byte Folded Reload
	s_waitcnt vmcnt(0)
	v_add_lshl_u32 v255, v168, v187, 4
	ds_read_b128 v[44:47], v255
	ds_read_b128 v[48:51], v255 offset:544
	ds_read_b128 v[64:67], v255 offset:3536
	;; [unrolled: 1-line block ×9, first 2 shown]
	v_cmp_gt_u16_e64 s[0:1], 17, v187
	s_and_saveexec_b64 s[2:3], s[0:1]
	s_cbranch_execz .LBB0_9
; %bb.8:
	ds_read_b128 v[72:75], v255 offset:2720
	ds_read_b128 v[80:83], v255 offset:5712
.LBB0_9:
	s_or_b64 exec, exec, s[2:3]
	s_movk_i32 s2, 0xffef
	v_add_co_u32_e64 v0, s[2:3], s2, v187
	v_addc_co_u32_e64 v1, s[2:3], 0, -1, s[2:3]
	v_cndmask_b32_e64 v2, v1, 0, s[0:1]
	v_cndmask_b32_e64 v1, v0, v187, s[0:1]
	v_lshlrev_b64 v[2:3], 4, v[1:2]
	v_mov_b32_e32 v0, s9
	v_add_co_u32_e64 v2, s[2:3], s8, v2
	v_addc_co_u32_e64 v3, s[2:3], v0, v3, s[2:3]
	v_add_u16_e32 v0, 34, v187
	s_movk_i32 s2, 0xf1
	v_mul_lo_u16_sdwa v4, v0, s2 dst_sel:DWORD dst_unused:UNUSED_PAD src0_sel:BYTE_0 src1_sel:DWORD
	v_lshrrev_b16_e32 v4, 12, v4
	v_mul_lo_u16_e32 v5, 17, v4
	v_sub_u16_e32 v5, v0, v5
	v_mov_b32_e32 v0, 4
	v_lshlrev_b32_sdwa v6, v0, v5 dst_sel:DWORD dst_unused:UNUSED_PAD src0_sel:DWORD src1_sel:BYTE_0
	global_load_dwordx4 v[36:39], v[2:3], off
	global_load_dwordx4 v[24:27], v6, s[8:9]
	v_add_u16_e32 v2, 0x44, v187
	v_mul_lo_u16_sdwa v3, v2, s2 dst_sel:DWORD dst_unused:UNUSED_PAD src0_sel:BYTE_0 src1_sel:DWORD
	v_add_u16_e32 v7, 0x66, v187
	v_lshrrev_b16_e32 v3, 12, v3
	v_mul_lo_u16_sdwa v8, v7, s2 dst_sel:DWORD dst_unused:UNUSED_PAD src0_sel:BYTE_0 src1_sel:DWORD
	v_mul_lo_u16_e32 v6, 17, v3
	v_lshrrev_b16_e32 v8, 12, v8
	v_sub_u16_e32 v2, v2, v6
	v_mul_lo_u16_e32 v9, 17, v8
	v_lshlrev_b32_sdwa v6, v0, v2 dst_sel:DWORD dst_unused:UNUSED_PAD src0_sel:DWORD src1_sel:BYTE_0
	v_sub_u16_e32 v7, v7, v9
	v_lshlrev_b32_sdwa v9, v0, v7 dst_sel:DWORD dst_unused:UNUSED_PAD src0_sel:DWORD src1_sel:BYTE_0
	global_load_dwordx4 v[32:35], v6, s[8:9]
	global_load_dwordx4 v[28:31], v9, s[8:9]
	v_add_u16_e32 v6, 0x88, v187
	v_mul_lo_u16_sdwa v9, v6, s2 dst_sel:DWORD dst_unused:UNUSED_PAD src0_sel:BYTE_0 src1_sel:DWORD
	v_lshrrev_b16_e32 v9, 12, v9
	v_mul_lo_u16_e32 v10, 17, v9
	v_sub_u16_e32 v6, v6, v10
	v_lshlrev_b32_sdwa v10, v0, v6 dst_sel:DWORD dst_unused:UNUSED_PAD src0_sel:DWORD src1_sel:BYTE_0
	global_load_dwordx4 v[40:43], v10, s[8:9]
	v_add_u16_e32 v0, 0xaa, v187
	v_mul_lo_u16_sdwa v11, v0, s2 dst_sel:DWORD dst_unused:UNUSED_PAD src0_sel:BYTE_0 src1_sel:DWORD
	v_lshrrev_b16_e32 v11, 12, v11
	v_mul_lo_u16_e32 v11, 17, v11
	v_sub_u16_e32 v0, v0, v11
	buffer_store_dword v0, off, s[60:63], 0 offset:224 ; 4-byte Folded Spill
	v_and_b32_e32 v0, 0xff, v0
	v_lshlrev_b32_e32 v10, 4, v0
	global_load_dwordx4 v[233:236], v10, s[8:9]
	s_load_dwordx4 s[4:7], s[24:25], 0x0
	s_waitcnt vmcnt(0) lgkmcnt(0)
	s_barrier
	v_cmp_lt_u16_e64 s[2:3], 16, v187
	v_cndmask_b32_e64 v10, 0, 34, s[2:3]
	v_add_u32_e32 v1, v1, v10
	v_mul_u32_u24_e32 v3, 34, v3
	v_add_lshl_u32 v10, v168, v1, 4
	v_mad_legacy_u16 v1, v4, 34, v5
	v_add_u32_sdwa v2, v3, v2 dst_sel:DWORD dst_unused:UNUSED_PAD src0_sel:DWORD src1_sel:BYTE_0
	v_and_b32_e32 v1, 0xff, v1
	v_add_lshl_u32 v3, v168, v2, 4
	v_add_lshl_u32 v4, v168, v1, 4
	v_mul_u32_u24_e32 v8, 34, v8
	v_mul_f64 v[1:2], v[90:91], v[38:39]
	v_mul_f64 v[22:23], v[66:67], v[26:27]
	;; [unrolled: 1-line block ×4, first 2 shown]
	v_fma_f64 v[1:2], v[88:89], v[36:37], -v[1:2]
	v_fma_f64 v[64:65], v[64:65], v[24:25], -v[22:23]
	buffer_store_dword v24, off, s[60:63], 0 offset:72 ; 4-byte Folded Spill
	s_nop 0
	buffer_store_dword v25, off, s[60:63], 0 offset:76 ; 4-byte Folded Spill
	buffer_store_dword v26, off, s[60:63], 0 offset:80 ; 4-byte Folded Spill
	;; [unrolled: 1-line block ×3, first 2 shown]
	v_fma_f64 v[88:89], v[90:91], v[36:37], v[20:21]
	v_mul_f64 v[94:95], v[70:71], v[34:35]
	v_mul_f64 v[98:99], v[86:87], v[30:31]
	;; [unrolled: 1-line block ×4, first 2 shown]
	v_add_f64 v[20:21], v[44:45], -v[1:2]
	v_add_f64 v[64:65], v[48:49], -v[64:65]
	;; [unrolled: 1-line block ×3, first 2 shown]
	v_add_u32_sdwa v1, v8, v7 dst_sel:DWORD dst_unused:UNUSED_PAD src0_sel:DWORD src1_sel:BYTE_0
	v_fma_f64 v[68:69], v[68:69], v[32:33], -v[94:95]
	buffer_store_dword v32, off, s[60:63], 0 offset:104 ; 4-byte Folded Spill
	s_nop 0
	buffer_store_dword v33, off, s[60:63], 0 offset:108 ; 4-byte Folded Spill
	buffer_store_dword v34, off, s[60:63], 0 offset:112 ; 4-byte Folded Spill
	buffer_store_dword v35, off, s[60:63], 0 offset:116 ; 4-byte Folded Spill
	v_fma_f64 v[84:85], v[84:85], v[28:29], -v[98:99]
	buffer_store_dword v28, off, s[60:63], 0 offset:88 ; 4-byte Folded Spill
	s_nop 0
	buffer_store_dword v29, off, s[60:63], 0 offset:92 ; 4-byte Folded Spill
	buffer_store_dword v30, off, s[60:63], 0 offset:96 ; 4-byte Folded Spill
	;; [unrolled: 1-line block ×3, first 2 shown]
	v_mul_f64 v[102:103], v[78:79], v[42:43]
	v_mul_f64 v[104:105], v[76:77], v[42:43]
	v_fma_f64 v[44:45], v[44:45], 2.0, -v[20:21]
	v_fma_f64 v[46:47], v[46:47], 2.0, -v[22:23]
	v_add_f64 v[68:69], v[56:57], -v[68:69]
	v_mul_f64 v[106:107], v[82:83], v[235:236]
	v_mul_f64 v[108:109], v[80:81], v[235:236]
	v_fma_f64 v[48:49], v[48:49], 2.0, -v[64:65]
	v_fma_f64 v[90:91], v[76:77], v[40:41], -v[102:103]
	v_add_f64 v[76:77], v[52:53], -v[84:85]
	v_add_lshl_u32 v1, v168, v1, 4
	ds_write_b128 v10, v[20:23] offset:272
	v_fma_f64 v[56:57], v[56:57], 2.0, -v[68:69]
	v_fma_f64 v[94:95], v[80:81], v[233:234], -v[106:107]
	buffer_store_dword v10, off, s[60:63], 0 offset:136 ; 4-byte Folded Spill
	v_add_f64 v[80:81], v[60:61], -v[90:91]
	v_fma_f64 v[52:53], v[52:53], 2.0, -v[76:77]
	v_add_f64 v[84:85], v[72:73], -v[94:95]
	v_fma_f64 v[60:61], v[60:61], 2.0, -v[80:81]
	v_fma_f64 v[66:67], v[66:67], v[24:25], v[92:93]
	v_fma_f64 v[92:93], v[78:79], v[40:41], v[104:105]
	v_add_f64 v[66:67], v[50:51], -v[66:67]
	v_fma_f64 v[70:71], v[70:71], v[32:33], v[96:97]
	v_fma_f64 v[96:97], v[82:83], v[233:234], v[108:109]
	v_fma_f64 v[86:87], v[86:87], v[28:29], v[100:101]
	v_add_f64 v[82:83], v[62:63], -v[92:93]
	v_fma_f64 v[50:51], v[50:51], 2.0, -v[66:67]
	ds_write_b128 v10, v[44:47]
	ds_write_b128 v4, v[48:51]
	v_add_f64 v[78:79], v[54:55], -v[86:87]
	v_add_f64 v[70:71], v[58:59], -v[70:71]
	;; [unrolled: 1-line block ×3, first 2 shown]
	v_fma_f64 v[62:63], v[62:63], 2.0, -v[82:83]
	buffer_store_dword v4, off, s[60:63], 0 offset:128 ; 4-byte Folded Spill
	v_fma_f64 v[54:55], v[54:55], 2.0, -v[78:79]
	v_fma_f64 v[58:59], v[58:59], 2.0, -v[70:71]
	ds_write_b128 v4, v[64:67] offset:272
	ds_write_b128 v3, v[56:59]
	ds_write_b128 v3, v[68:71] offset:272
	ds_write_b128 v1, v[52:55]
	buffer_store_dword v1, off, s[60:63], 0 offset:144 ; 4-byte Folded Spill
	ds_write_b128 v1, v[76:79] offset:272
	v_mul_u32_u24_e32 v1, 34, v9
	v_add_u32_sdwa v1, v1, v6 dst_sel:DWORD dst_unused:UNUSED_PAD src0_sel:DWORD src1_sel:BYTE_0
	v_add_lshl_u32 v1, v168, v1, 4
	buffer_store_dword v3, off, s[60:63], 0 offset:120 ; 4-byte Folded Spill
	ds_write_b128 v1, v[60:63]
	buffer_store_dword v1, off, s[60:63], 0 offset:152 ; 4-byte Folded Spill
	ds_write_b128 v1, v[80:83] offset:272
	s_mov_b64 s[2:3], exec
	buffer_load_dword v24, off, s[60:63], 0 offset:4 ; 4-byte Folded Reload
	buffer_load_dword v25, off, s[60:63], 0 offset:8 ; 4-byte Folded Reload
	;; [unrolled: 1-line block ×12, first 2 shown]
	s_and_b64 s[10:11], s[2:3], s[0:1]
	s_mov_b64 exec, s[10:11]
	s_cbranch_execz .LBB0_11
; %bb.10:
	v_fma_f64 v[22:23], v[74:75], 2.0, -v[86:87]
	v_fma_f64 v[20:21], v[72:73], 2.0, -v[84:85]
	v_add_lshl_u32 v0, v168, v0, 4
	ds_write_b128 v0, v[20:23] offset:5440
	ds_write_b128 v0, v[84:87] offset:5712
.LBB0_11:
	s_or_b64 exec, exec, s[2:3]
	v_mov_b32_e32 v0, s8
	s_movk_i32 s2, 0xa0
	v_mov_b32_e32 v1, s9
	v_mad_u64_u32 v[0:1], s[2:3], v187, s2, v[0:1]
	s_waitcnt vmcnt(0) lgkmcnt(0)
	s_barrier
	global_load_dwordx4 v[80:83], v[0:1], off offset:272
	global_load_dwordx4 v[72:75], v[0:1], off offset:288
	global_load_dwordx4 v[56:59], v[0:1], off offset:304
	global_load_dwordx4 v[32:35], v[0:1], off offset:320
	global_load_dwordx4 v[76:79], v[0:1], off offset:336
	global_load_dwordx4 v[48:51], v[0:1], off offset:352
	global_load_dwordx4 v[44:47], v[0:1], off offset:368
	global_load_dwordx4 v[4:7], v[0:1], off offset:384
	global_load_dwordx4 v[64:67], v[0:1], off offset:400
	global_load_dwordx4 v[68:71], v[0:1], off offset:416
	ds_read_b128 v[0:3], v255
	ds_read_b128 v[20:23], v255 offset:544
	ds_read_b128 v[88:91], v255 offset:1088
	;; [unrolled: 1-line block ×10, first 2 shown]
	s_mov_b32 s26, 0xf8bb580b
	s_mov_b32 s27, 0xbfe14ced
	;; [unrolled: 1-line block ×26, first 2 shown]
	s_waitcnt vmcnt(9) lgkmcnt(9)
	v_mul_f64 v[124:125], v[22:23], v[82:83]
	v_mul_f64 v[126:127], v[20:21], v[82:83]
	s_waitcnt vmcnt(8) lgkmcnt(8)
	v_mul_f64 v[128:129], v[90:91], v[74:75]
	s_waitcnt vmcnt(6) lgkmcnt(6)
	v_mul_f64 v[136:137], v[98:99], v[34:35]
	v_mul_f64 v[138:139], v[96:97], v[34:35]
	s_waitcnt vmcnt(4) lgkmcnt(4)
	v_mul_f64 v[144:145], v[106:107], v[50:51]
	;; [unrolled: 3-line block ×4, first 2 shown]
	v_mul_f64 v[154:155], v[112:113], v[6:7]
	v_fma_f64 v[96:97], v[96:97], v[32:33], -v[136:137]
	buffer_store_dword v32, off, s[60:63], 0 offset:176 ; 4-byte Folded Spill
	s_nop 0
	buffer_store_dword v33, off, s[60:63], 0 offset:180 ; 4-byte Folded Spill
	buffer_store_dword v34, off, s[60:63], 0 offset:184 ; 4-byte Folded Spill
	buffer_store_dword v35, off, s[60:63], 0 offset:188 ; 4-byte Folded Spill
	v_fma_f64 v[104:105], v[104:105], v[48:49], -v[144:145]
	buffer_store_dword v48, off, s[60:63], 0 offset:208 ; 4-byte Folded Spill
	s_nop 0
	buffer_store_dword v49, off, s[60:63], 0 offset:212 ; 4-byte Folded Spill
	buffer_store_dword v50, off, s[60:63], 0 offset:216 ; 4-byte Folded Spill
	buffer_store_dword v51, off, s[60:63], 0 offset:220 ; 4-byte Folded Spill
	;; [unrolled: 6-line block ×4, first 2 shown]
	s_waitcnt vmcnt(17) lgkmcnt(1)
	v_mul_f64 v[156:157], v[118:119], v[66:67]
	v_fma_f64 v[20:21], v[20:21], v[80:81], -v[124:125]
	v_mul_f64 v[130:131], v[88:89], v[74:75]
	v_mul_f64 v[132:133], v[94:95], v[58:59]
	;; [unrolled: 1-line block ×3, first 2 shown]
	v_fma_f64 v[22:23], v[22:23], v[80:81], v[126:127]
	v_fma_f64 v[88:89], v[88:89], v[72:73], -v[128:129]
	v_mul_f64 v[134:135], v[92:93], v[58:59]
	v_fma_f64 v[116:117], v[116:117], v[64:65], -v[156:157]
	v_add_f64 v[124:125], v[0:1], v[20:21]
	v_fma_f64 v[90:91], v[90:91], v[72:73], v[130:131]
	v_fma_f64 v[92:93], v[92:93], v[56:57], -v[132:133]
	v_fma_f64 v[118:119], v[118:119], v[64:65], v[158:159]
	v_add_f64 v[126:127], v[2:3], v[22:23]
	v_mul_f64 v[140:141], v[102:103], v[78:79]
	v_fma_f64 v[94:95], v[94:95], v[56:57], v[134:135]
	v_add_f64 v[132:133], v[88:89], v[116:117]
	v_add_f64 v[136:137], v[88:89], -v[116:117]
	v_add_f64 v[88:89], v[124:125], v[88:89]
	v_mul_f64 v[142:143], v[100:101], v[78:79]
	v_add_f64 v[134:135], v[90:91], v[118:119]
	s_waitcnt vmcnt(16) lgkmcnt(0)
	v_mul_f64 v[160:161], v[122:123], v[70:71]
	v_mul_f64 v[162:163], v[120:121], v[70:71]
	v_fma_f64 v[100:101], v[100:101], v[76:77], -v[140:141]
	v_mul_f64 v[158:159], v[136:137], s[22:23]
	v_add_f64 v[88:89], v[88:89], v[92:93]
	v_fma_f64 v[102:103], v[102:103], v[76:77], v[142:143]
	v_fma_f64 v[120:121], v[120:121], v[68:69], -v[160:161]
	v_fma_f64 v[122:123], v[122:123], v[68:69], v[162:163]
	v_add_f64 v[88:89], v[88:89], v[96:97]
	v_add_f64 v[128:129], v[20:21], v[120:121]
	;; [unrolled: 1-line block ×3, first 2 shown]
	v_add_f64 v[22:23], v[22:23], -v[122:123]
	v_add_f64 v[20:21], v[20:21], -v[120:121]
	v_add_f64 v[88:89], v[88:89], v[100:101]
	v_mul_f64 v[124:125], v[22:23], s[26:27]
	v_mul_f64 v[140:141], v[22:23], s[16:17]
	;; [unrolled: 1-line block ×3, first 2 shown]
	v_add_f64 v[88:89], v[88:89], v[104:105]
	v_mul_f64 v[144:145], v[22:23], s[10:11]
	v_mul_f64 v[148:149], v[22:23], s[22:23]
	;; [unrolled: 1-line block ×3, first 2 shown]
	v_fma_f64 v[160:161], v[128:129], s[18:19], -v[124:125]
	v_fma_f64 v[124:125], v[128:129], s[18:19], v[124:125]
	v_fma_f64 v[164:165], v[128:129], s[2:3], -v[140:141]
	v_add_f64 v[88:89], v[88:89], v[108:109]
	v_fma_f64 v[166:167], v[130:131], s[2:3], v[142:143]
	v_fma_f64 v[140:141], v[128:129], s[2:3], v[140:141]
	v_fma_f64 v[142:143], v[130:131], s[2:3], -v[142:143]
	v_fma_f64 v[168:169], v[128:129], s[8:9], -v[144:145]
	v_fma_f64 v[144:145], v[128:129], s[8:9], v[144:145]
	v_fma_f64 v[172:173], v[128:129], s[20:21], -v[148:149]
	v_fma_f64 v[148:149], v[128:129], s[20:21], v[148:149]
	v_add_f64 v[88:89], v[88:89], v[112:113]
	v_fma_f64 v[176:177], v[128:129], s[24:25], -v[22:23]
	v_fma_f64 v[22:23], v[128:129], s[24:25], v[22:23]
	v_add_f64 v[160:161], v[0:1], v[160:161]
	v_fma_f64 v[98:99], v[98:99], v[32:33], v[138:139]
	v_add_f64 v[138:139], v[90:91], -v[118:119]
	v_add_f64 v[90:91], v[126:127], v[90:91]
	v_fma_f64 v[106:107], v[106:107], v[48:49], v[146:147]
	v_fma_f64 v[110:111], v[110:111], v[44:45], v[150:151]
	v_mul_f64 v[126:127], v[20:21], s[26:27]
	v_fma_f64 v[114:115], v[114:115], v[4:5], v[154:155]
	v_mul_f64 v[146:147], v[20:21], s[10:11]
	v_mul_f64 v[150:151], v[20:21], s[22:23]
	;; [unrolled: 1-line block ×3, first 2 shown]
	v_add_f64 v[90:91], v[90:91], v[94:95]
	v_mul_f64 v[152:153], v[138:139], s[16:17]
	v_mul_f64 v[154:155], v[136:137], s[16:17]
	v_fma_f64 v[162:163], v[130:131], s[18:19], v[126:127]
	v_mul_f64 v[156:157], v[138:139], s[22:23]
	v_fma_f64 v[126:127], v[130:131], s[18:19], -v[126:127]
	v_fma_f64 v[170:171], v[130:131], s[8:9], v[146:147]
	v_fma_f64 v[146:147], v[130:131], s[8:9], -v[146:147]
	v_add_f64 v[90:91], v[90:91], v[98:99]
	v_fma_f64 v[174:175], v[130:131], s[20:21], v[150:151]
	v_fma_f64 v[150:151], v[130:131], s[20:21], -v[150:151]
	v_fma_f64 v[178:179], v[130:131], s[24:25], v[20:21]
	v_fma_f64 v[20:21], v[130:131], s[24:25], -v[20:21]
	v_fma_f64 v[128:129], v[132:133], s[2:3], -v[152:153]
	v_fma_f64 v[130:131], v[134:135], s[2:3], v[154:155]
	v_fma_f64 v[152:153], v[132:133], s[2:3], v[152:153]
	v_add_f64 v[90:91], v[90:91], v[102:103]
	v_add_f64 v[162:163], v[2:3], v[162:163]
	;; [unrolled: 1-line block ×4, first 2 shown]
	v_fma_f64 v[154:155], v[134:135], s[2:3], -v[154:155]
	v_fma_f64 v[180:181], v[132:133], s[20:21], -v[156:157]
	v_add_f64 v[126:127], v[2:3], v[126:127]
	v_add_f64 v[164:165], v[0:1], v[164:165]
	;; [unrolled: 1-line block ×16, first 2 shown]
	v_mul_f64 v[152:153], v[138:139], s[34:35]
	v_add_f64 v[124:125], v[180:181], v[164:165]
	v_add_f64 v[90:91], v[90:91], v[114:115]
	v_mul_f64 v[164:165], v[136:137], s[34:35]
	s_mov_b32 s17, 0x3fed1bb4
	v_add_f64 v[90:91], v[90:91], v[118:119]
	v_add_f64 v[118:119], v[0:1], v[148:149]
	;; [unrolled: 1-line block ×8, first 2 shown]
	v_mul_f64 v[128:129], v[138:139], s[36:37]
	v_mul_f64 v[130:131], v[136:137], s[36:37]
	v_add_f64 v[90:91], v[90:91], v[122:123]
	v_add_f64 v[122:123], v[154:155], v[126:127]
	v_fma_f64 v[126:127], v[134:135], s[20:21], v[158:159]
	v_fma_f64 v[154:155], v[132:133], s[20:21], v[156:157]
	v_fma_f64 v[156:157], v[134:135], s[20:21], -v[158:159]
	v_fma_f64 v[162:163], v[132:133], s[8:9], -v[152:153]
	;; [unrolled: 1-line block ×3, first 2 shown]
	v_fma_f64 v[160:161], v[134:135], s[24:25], v[130:131]
	v_fma_f64 v[130:131], v[134:135], s[24:25], -v[130:131]
	v_fma_f64 v[152:153], v[132:133], s[8:9], v[152:153]
	v_mul_f64 v[138:139], v[138:139], s[30:31]
	v_add_f64 v[140:141], v[154:155], v[140:141]
	v_fma_f64 v[128:129], v[132:133], s[24:25], v[128:129]
	v_add_f64 v[142:143], v[156:157], v[142:143]
	v_add_f64 v[154:155], v[158:159], v[168:169]
	v_add_f64 v[158:159], v[94:95], -v[114:115]
	v_add_f64 v[130:131], v[130:131], v[146:147]
	v_fma_f64 v[146:147], v[134:135], s[8:9], v[164:165]
	v_add_f64 v[118:119], v[152:153], v[118:119]
	v_fma_f64 v[152:153], v[132:133], s[18:19], -v[138:139]
	v_add_f64 v[156:157], v[160:161], v[170:171]
	v_mul_f64 v[136:137], v[136:137], s[30:31]
	v_fma_f64 v[160:161], v[134:135], s[8:9], -v[164:165]
	v_fma_f64 v[132:133], v[132:133], s[18:19], v[138:139]
	v_add_f64 v[128:129], v[128:129], v[144:145]
	v_add_f64 v[116:117], v[146:147], v[116:117]
	v_add_f64 v[146:147], v[92:93], -v[112:113]
	v_add_f64 v[92:93], v[92:93], v[112:113]
	v_mul_f64 v[112:113], v[158:159], s[10:11]
	v_add_f64 v[138:139], v[152:153], v[150:151]
	v_mul_f64 v[152:153], v[158:159], s[36:37]
	v_add_f64 v[144:145], v[162:163], v[172:173]
	v_fma_f64 v[162:163], v[134:135], s[18:19], v[136:137]
	v_add_f64 v[148:149], v[160:161], v[148:149]
	v_add_f64 v[94:95], v[94:95], v[114:115]
	v_mul_f64 v[114:115], v[146:147], s[10:11]
	v_fma_f64 v[134:135], v[134:135], s[18:19], -v[136:137]
	v_fma_f64 v[136:137], v[92:93], s[8:9], -v[112:113]
	v_mul_f64 v[160:161], v[146:147], s[36:37]
	v_add_f64 v[0:1], v[132:133], v[0:1]
	v_fma_f64 v[112:113], v[92:93], s[8:9], v[112:113]
	v_fma_f64 v[132:133], v[92:93], s[24:25], -v[152:153]
	v_add_f64 v[126:127], v[126:127], v[166:167]
	v_add_f64 v[150:151], v[162:163], v[174:175]
	v_fma_f64 v[162:163], v[94:95], s[8:9], v[114:115]
	v_add_f64 v[2:3], v[134:135], v[2:3]
	v_fma_f64 v[114:115], v[94:95], s[8:9], -v[114:115]
	v_fma_f64 v[134:135], v[94:95], s[24:25], v[160:161]
	v_add_f64 v[112:113], v[112:113], v[120:121]
	v_add_f64 v[120:121], v[132:133], v[124:125]
	v_fma_f64 v[124:125], v[92:93], s[24:25], v[152:153]
	v_mul_f64 v[152:153], v[158:159], s[26:27]
	v_add_f64 v[20:21], v[136:137], v[20:21]
	v_mul_f64 v[136:137], v[158:159], s[16:17]
	v_add_f64 v[114:115], v[114:115], v[122:123]
	v_add_f64 v[122:123], v[134:135], v[126:127]
	v_fma_f64 v[126:127], v[94:95], s[24:25], -v[160:161]
	v_mul_f64 v[160:161], v[146:147], s[26:27]
	v_add_f64 v[124:125], v[124:125], v[140:141]
	v_fma_f64 v[140:141], v[92:93], s[18:19], -v[152:153]
	v_add_f64 v[22:23], v[162:163], v[22:23]
	v_mul_f64 v[162:163], v[146:147], s[16:17]
	v_fma_f64 v[132:133], v[92:93], s[2:3], -v[136:137]
	v_fma_f64 v[136:137], v[92:93], s[2:3], v[136:137]
	v_add_f64 v[126:127], v[126:127], v[142:143]
	v_fma_f64 v[142:143], v[94:95], s[18:19], v[160:161]
	v_mul_f64 v[146:147], v[146:147], s[22:23]
	v_add_f64 v[140:141], v[140:141], v[144:145]
	v_add_f64 v[144:145], v[96:97], -v[108:109]
	v_fma_f64 v[134:135], v[94:95], s[2:3], v[162:163]
	v_fma_f64 v[162:163], v[94:95], s[2:3], -v[162:163]
	v_add_f64 v[132:133], v[132:133], v[154:155]
	v_add_f64 v[128:129], v[136:137], v[128:129]
	v_mul_f64 v[136:137], v[158:159], s[22:23]
	v_fma_f64 v[154:155], v[94:95], s[18:19], -v[160:161]
	v_add_f64 v[116:117], v[142:143], v[116:117]
	v_add_f64 v[142:143], v[98:99], -v[110:111]
	v_fma_f64 v[158:159], v[94:95], s[20:21], v[146:147]
	v_add_f64 v[98:99], v[98:99], v[110:111]
	v_mul_f64 v[110:111], v[144:145], s[22:23]
	v_fma_f64 v[94:95], v[94:95], s[20:21], -v[146:147]
	v_mul_f64 v[146:147], v[144:145], s[34:35]
	v_add_f64 v[134:135], v[134:135], v[156:157]
	v_fma_f64 v[152:153], v[92:93], s[18:19], v[152:153]
	v_fma_f64 v[156:157], v[92:93], s[20:21], -v[136:137]
	v_add_f64 v[148:149], v[154:155], v[148:149]
	v_add_f64 v[96:97], v[96:97], v[108:109]
	v_mul_f64 v[108:109], v[142:143], s[22:23]
	v_fma_f64 v[92:93], v[92:93], s[20:21], v[136:137]
	v_mul_f64 v[136:137], v[142:143], s[34:35]
	v_fma_f64 v[154:155], v[98:99], s[20:21], v[110:111]
	v_fma_f64 v[110:111], v[98:99], s[20:21], -v[110:111]
	v_add_f64 v[2:3], v[94:95], v[2:3]
	v_fma_f64 v[94:95], v[98:99], s[8:9], v[146:147]
	v_add_f64 v[118:119], v[152:153], v[118:119]
	v_fma_f64 v[152:153], v[96:97], s[20:21], -v[108:109]
	v_fma_f64 v[108:109], v[96:97], s[20:21], v[108:109]
	v_add_f64 v[0:1], v[92:93], v[0:1]
	v_fma_f64 v[92:93], v[96:97], s[8:9], -v[136:137]
	v_add_f64 v[110:111], v[110:111], v[114:115]
	v_mul_f64 v[114:115], v[144:145], s[26:27]
	v_add_f64 v[122:123], v[94:95], v[122:123]
	v_mul_f64 v[94:95], v[144:145], s[28:29]
	v_add_f64 v[130:131], v[162:163], v[130:131]
	v_add_f64 v[150:151], v[158:159], v[150:151]
	;; [unrolled: 1-line block ×4, first 2 shown]
	v_mul_f64 v[112:113], v[142:143], s[26:27]
	v_add_f64 v[120:121], v[92:93], v[120:121]
	v_mul_f64 v[92:93], v[142:143], s[28:29]
	v_fma_f64 v[154:155], v[98:99], s[18:19], v[114:115]
	v_fma_f64 v[114:115], v[98:99], s[18:19], -v[114:115]
	v_fma_f64 v[158:159], v[98:99], s[24:25], v[94:95]
	v_add_f64 v[138:139], v[156:157], v[138:139]
	v_add_f64 v[20:21], v[152:153], v[20:21]
	v_fma_f64 v[136:137], v[96:97], s[8:9], v[136:137]
	v_fma_f64 v[152:153], v[96:97], s[18:19], -v[112:113]
	v_fma_f64 v[112:113], v[96:97], s[18:19], v[112:113]
	v_fma_f64 v[156:157], v[96:97], s[24:25], -v[92:93]
	v_add_f64 v[114:115], v[114:115], v[130:131]
	v_add_f64 v[130:131], v[158:159], v[116:117]
	v_add_f64 v[116:117], v[102:103], -v[106:107]
	v_fma_f64 v[146:147], v[98:99], s[8:9], -v[146:147]
	v_add_f64 v[124:125], v[136:137], v[124:125]
	v_add_f64 v[136:137], v[100:101], -v[104:105]
	v_add_f64 v[112:113], v[112:113], v[128:129]
	v_add_f64 v[128:129], v[156:157], v[140:141]
	v_mul_f64 v[140:141], v[142:143], s[16:17]
	v_mul_f64 v[142:143], v[144:145], s[16:17]
	v_fma_f64 v[92:93], v[96:97], s[24:25], v[92:93]
	v_add_f64 v[144:145], v[100:101], v[104:105]
	v_mul_f64 v[100:101], v[116:117], s[28:29]
	v_add_f64 v[126:127], v[146:147], v[126:127]
	v_add_f64 v[132:133], v[152:153], v[132:133]
	v_fma_f64 v[94:95], v[98:99], s[24:25], -v[94:95]
	v_add_f64 v[146:147], v[102:103], v[106:107]
	v_mul_f64 v[102:103], v[136:137], s[28:29]
	v_fma_f64 v[104:105], v[96:97], s[2:3], -v[140:141]
	v_fma_f64 v[106:107], v[98:99], s[2:3], v[142:143]
	v_add_f64 v[152:153], v[92:93], v[118:119]
	v_fma_f64 v[92:93], v[96:97], s[2:3], v[140:141]
	v_fma_f64 v[96:97], v[144:145], s[24:25], -v[100:101]
	v_add_f64 v[148:149], v[94:95], v[148:149]
	v_fma_f64 v[94:95], v[98:99], s[2:3], -v[142:143]
	v_fma_f64 v[98:99], v[146:147], s[24:25], v[102:103]
	v_mul_f64 v[118:119], v[116:117], s[22:23]
	v_add_f64 v[140:141], v[106:107], v[150:151]
	v_mul_f64 v[106:107], v[136:137], s[30:31]
	v_add_f64 v[0:1], v[92:93], v[0:1]
	v_add_f64 v[92:93], v[96:97], v[20:21]
	v_fma_f64 v[20:21], v[144:145], s[24:25], v[100:101]
	v_add_f64 v[2:3], v[94:95], v[2:3]
	v_add_f64 v[94:95], v[98:99], v[22:23]
	;; [unrolled: 1-line block ×3, first 2 shown]
	v_mul_f64 v[104:105], v[116:117], s[30:31]
	v_fma_f64 v[98:99], v[146:147], s[18:19], v[106:107]
	v_fma_f64 v[22:23], v[146:147], s[24:25], -v[102:103]
	v_mul_f64 v[142:143], v[136:137], s[22:23]
	v_add_f64 v[100:101], v[20:21], v[108:109]
	v_fma_f64 v[20:21], v[144:145], s[20:21], -v[118:119]
	v_add_f64 v[134:135], v[154:155], v[134:135]
	v_fma_f64 v[118:119], v[144:145], s[20:21], v[118:119]
	v_fma_f64 v[96:97], v[144:145], s[18:19], -v[104:105]
	v_add_f64 v[98:99], v[98:99], v[122:123]
	v_mul_f64 v[122:123], v[116:117], s[16:17]
	v_fma_f64 v[104:105], v[144:145], s[18:19], v[104:105]
	v_add_f64 v[102:103], v[22:23], v[110:111]
	v_add_f64 v[108:109], v[20:21], v[132:133]
	v_mul_f64 v[20:21], v[116:117], s[10:11]
	v_fma_f64 v[22:23], v[146:147], s[20:21], v[142:143]
	v_add_f64 v[96:97], v[96:97], v[120:121]
	v_fma_f64 v[120:121], v[146:147], s[20:21], -v[142:143]
	v_fma_f64 v[116:117], v[144:145], s[2:3], -v[122:123]
	v_add_f64 v[104:105], v[104:105], v[124:125]
	v_mul_f64 v[124:125], v[136:137], s[16:17]
	v_fma_f64 v[106:107], v[146:147], s[18:19], -v[106:107]
	v_fma_f64 v[132:133], v[144:145], s[8:9], -v[20:21]
	v_fma_f64 v[20:21], v[144:145], s[8:9], v[20:21]
	v_add_f64 v[110:111], v[22:23], v[134:135]
	v_mul_f64 v[22:23], v[136:137], s[10:11]
	v_add_f64 v[116:117], v[116:117], v[128:129]
	v_add_f64 v[112:113], v[118:119], v[112:113]
	;; [unrolled: 1-line block ×3, first 2 shown]
	v_fma_f64 v[118:119], v[146:147], s[2:3], v[124:125]
	v_fma_f64 v[120:121], v[144:145], s[2:3], v[122:123]
	v_add_f64 v[128:129], v[20:21], v[0:1]
	buffer_load_dword v0, off, s[60:63], 0 offset:52 ; 4-byte Folded Reload
	v_fma_f64 v[122:123], v[146:147], s[2:3], -v[124:125]
	v_fma_f64 v[134:135], v[146:147], s[8:9], v[22:23]
	v_fma_f64 v[22:23], v[146:147], s[8:9], -v[22:23]
	v_add_f64 v[106:107], v[106:107], v[126:127]
	v_add_f64 v[118:119], v[118:119], v[130:131]
	;; [unrolled: 1-line block ×7, first 2 shown]
	s_waitcnt vmcnt(0)
	v_lshl_add_u32 v168, v187, 4, v0
	ds_write_b128 v168, v[88:91]
	ds_write_b128 v168, v[92:95] offset:544
	ds_write_b128 v168, v[96:99] offset:1088
	;; [unrolled: 1-line block ×10, first 2 shown]
	s_waitcnt lgkmcnt(0)
	s_barrier
	s_and_saveexec_b64 s[8:9], vcc
	s_cbranch_execz .LBB0_13
; %bb.12:
	buffer_load_dword v4, off, s[60:63], 0 offset:56 ; 4-byte Folded Reload
	s_add_u32 s10, s12, 0x1760
	s_addc_u32 s11, s13, 0
	ds_read_b128 v[20:23], v168
	v_mov_b32_e32 v1, s11
	s_waitcnt vmcnt(0)
	global_load_dwordx4 v[132:135], v4, s[10:11]
	v_add_co_u32_e64 v0, s[2:3], s10, v4
	v_addc_co_u32_e64 v1, s[2:3], 0, v1, s[2:3]
	s_movk_i32 s2, 0x1000
	s_waitcnt vmcnt(0) lgkmcnt(0)
	v_mul_f64 v[2:3], v[22:23], v[134:135]
	v_fma_f64 v[136:137], v[20:21], v[132:133], -v[2:3]
	v_mul_f64 v[2:3], v[20:21], v[134:135]
	v_fma_f64 v[138:139], v[22:23], v[132:133], v[2:3]
	global_load_dwordx4 v[132:135], v4, s[10:11] offset:352
	ds_read_b128 v[20:23], v168 offset:352
	ds_write_b128 v168, v[136:139]
	s_waitcnt vmcnt(0) lgkmcnt(1)
	v_mul_f64 v[2:3], v[22:23], v[134:135]
	v_fma_f64 v[136:137], v[20:21], v[132:133], -v[2:3]
	v_mul_f64 v[2:3], v[20:21], v[134:135]
	v_fma_f64 v[138:139], v[22:23], v[132:133], v[2:3]
	global_load_dwordx4 v[132:135], v4, s[10:11] offset:704
	ds_read_b128 v[20:23], v168 offset:704
	ds_write_b128 v168, v[136:139] offset:352
	s_waitcnt vmcnt(0) lgkmcnt(1)
	v_mul_f64 v[2:3], v[22:23], v[134:135]
	v_fma_f64 v[136:137], v[20:21], v[132:133], -v[2:3]
	v_mul_f64 v[2:3], v[20:21], v[134:135]
	v_fma_f64 v[138:139], v[22:23], v[132:133], v[2:3]
	global_load_dwordx4 v[132:135], v4, s[10:11] offset:1056
	ds_read_b128 v[20:23], v168 offset:1056
	ds_write_b128 v168, v[136:139] offset:704
	;; [unrolled: 8-line block ×9, first 2 shown]
	s_waitcnt vmcnt(0) lgkmcnt(1)
	v_mul_f64 v[2:3], v[22:23], v[134:135]
	v_fma_f64 v[136:137], v[20:21], v[132:133], -v[2:3]
	v_mul_f64 v[2:3], v[20:21], v[134:135]
	v_fma_f64 v[138:139], v[22:23], v[132:133], v[2:3]
	global_load_dwordx4 v[132:135], v4, s[10:11] offset:3872
	ds_read_b128 v[20:23], v168 offset:3872
	v_or_b32_e32 v4, 0x1600, v4
	ds_write_b128 v168, v[136:139] offset:3520
	s_waitcnt vmcnt(0) lgkmcnt(1)
	v_mul_f64 v[2:3], v[22:23], v[134:135]
	v_fma_f64 v[136:137], v[20:21], v[132:133], -v[2:3]
	v_mul_f64 v[2:3], v[20:21], v[134:135]
	v_fma_f64 v[138:139], v[22:23], v[132:133], v[2:3]
	ds_read_b128 v[20:23], v168 offset:4224
	ds_write_b128 v168, v[136:139] offset:3872
	v_add_co_u32_e64 v136, s[2:3], s2, v0
	v_addc_co_u32_e64 v137, s[2:3], 0, v1, s[2:3]
	global_load_dwordx4 v[0:3], v[136:137], off offset:128
	s_waitcnt vmcnt(0) lgkmcnt(1)
	v_mul_f64 v[132:133], v[22:23], v[2:3]
	v_mul_f64 v[2:3], v[20:21], v[2:3]
	v_fma_f64 v[132:133], v[20:21], v[0:1], -v[132:133]
	v_fma_f64 v[134:135], v[22:23], v[0:1], v[2:3]
	global_load_dwordx4 v[20:23], v[136:137], off offset:480
	ds_read_b128 v[0:3], v168 offset:4576
	ds_write_b128 v168, v[132:135] offset:4224
	s_waitcnt vmcnt(0) lgkmcnt(1)
	v_mul_f64 v[132:133], v[2:3], v[22:23]
	v_fma_f64 v[132:133], v[0:1], v[20:21], -v[132:133]
	v_mul_f64 v[0:1], v[0:1], v[22:23]
	v_fma_f64 v[134:135], v[2:3], v[20:21], v[0:1]
	global_load_dwordx4 v[20:23], v[136:137], off offset:832
	ds_read_b128 v[0:3], v168 offset:4928
	ds_write_b128 v168, v[132:135] offset:4576
	s_waitcnt vmcnt(0) lgkmcnt(1)
	v_mul_f64 v[132:133], v[2:3], v[22:23]
	v_fma_f64 v[132:133], v[0:1], v[20:21], -v[132:133]
	v_mul_f64 v[0:1], v[0:1], v[22:23]
	v_fma_f64 v[134:135], v[2:3], v[20:21], v[0:1]
	global_load_dwordx4 v[20:23], v[136:137], off offset:1184
	ds_read_b128 v[0:3], v168 offset:5280
	ds_write_b128 v168, v[132:135] offset:4928
	s_waitcnt vmcnt(0) lgkmcnt(1)
	v_mul_f64 v[132:133], v[2:3], v[22:23]
	v_fma_f64 v[132:133], v[0:1], v[20:21], -v[132:133]
	v_mul_f64 v[0:1], v[0:1], v[22:23]
	v_fma_f64 v[134:135], v[2:3], v[20:21], v[0:1]
	global_load_dwordx4 v[20:23], v4, s[10:11]
	ds_read_b128 v[0:3], v168 offset:5632
	ds_write_b128 v168, v[132:135] offset:5280
	s_waitcnt vmcnt(0) lgkmcnt(1)
	v_mul_f64 v[132:133], v[2:3], v[22:23]
	v_fma_f64 v[132:133], v[0:1], v[20:21], -v[132:133]
	v_mul_f64 v[0:1], v[0:1], v[22:23]
	v_fma_f64 v[134:135], v[2:3], v[20:21], v[0:1]
	ds_write_b128 v168, v[132:135] offset:5632
.LBB0_13:
	s_or_b64 exec, exec, s[8:9]
	s_waitcnt lgkmcnt(0)
	s_barrier
	s_and_saveexec_b64 s[2:3], vcc
	s_cbranch_execz .LBB0_15
; %bb.14:
	ds_read_b128 v[88:91], v168
	ds_read_b128 v[92:95], v168 offset:352
	ds_read_b128 v[96:99], v168 offset:704
	;; [unrolled: 1-line block ×16, first 2 shown]
.LBB0_15:
	s_or_b64 exec, exec, s[2:3]
	s_waitcnt lgkmcnt(0)
	v_add_f64 v[6:7], v[94:95], -v[14:15]
	s_mov_b32 s10, 0x6c9a05f6
	s_mov_b32 s11, 0xbfe9895b
	v_add_f64 v[169:170], v[92:93], v[12:13]
	v_add_f64 v[171:172], v[94:95], v[14:15]
	v_add_f64 v[150:151], v[98:99], -v[18:19]
	s_mov_b32 s2, 0x6ed5f1bb
	s_mov_b32 s30, 0x923c349f
	v_mul_f64 v[237:238], v[6:7], s[10:11]
	s_mov_b32 s3, 0xbfe348c8
	s_mov_b32 s31, 0x3feec746
	v_add_f64 v[185:186], v[92:93], -v[12:13]
	v_mul_f64 v[154:155], v[171:172], s[2:3]
	v_add_f64 v[175:176], v[96:97], v[16:17]
	v_add_f64 v[177:178], v[98:99], v[18:19]
	v_mul_f64 v[32:33], v[150:151], s[30:31]
	v_fma_f64 v[0:1], v[169:170], s[2:3], -v[237:238]
	s_mov_b32 s18, 0x4363dd80
	s_mov_b32 s16, 0xc61f0d01
	;; [unrolled: 1-line block ×4, first 2 shown]
	v_fma_f64 v[2:3], v[185:186], s[10:11], v[154:155]
	v_mul_f64 v[44:45], v[6:7], s[18:19]
	v_add_f64 v[195:196], v[96:97], -v[16:17]
	v_add_f64 v[0:1], v[88:89], v[0:1]
	v_mul_f64 v[46:47], v[177:178], s[16:17]
	v_fma_f64 v[132:133], v[175:176], s[16:17], -v[32:33]
	s_mov_b32 s8, 0x910ea3b9
	s_mov_b32 s38, 0x7c9e640b
	;; [unrolled: 1-line block ×4, first 2 shown]
	v_add_f64 v[2:3], v[90:91], v[2:3]
	v_mul_f64 v[162:163], v[171:172], s[8:9]
	v_fma_f64 v[20:21], v[169:170], s[8:9], -v[44:45]
	v_add_f64 v[0:1], v[132:133], v[0:1]
	v_fma_f64 v[132:133], v[195:196], s[30:31], v[46:47]
	v_mul_f64 v[197:198], v[150:151], s[38:39]
	s_mov_b32 s20, 0x2b2883cd
	s_mov_b32 s21, 0x3fdc86fa
	v_mul_f64 v[166:167], v[177:178], s[20:21]
	v_fma_f64 v[22:23], v[185:186], s[18:19], v[162:163]
	v_add_f64 v[20:21], v[88:89], v[20:21]
	v_add_f64 v[152:153], v[110:111], -v[26:27]
	v_add_f64 v[2:3], v[132:133], v[2:3]
	v_fma_f64 v[132:133], v[175:176], s[20:21], -v[197:198]
	s_mov_b32 s26, 0x5d8e7cdc
	s_mov_b32 s27, 0xbfd71e95
	v_add_f64 v[181:182], v[108:109], v[24:25]
	v_add_f64 v[22:23], v[90:91], v[22:23]
	;; [unrolled: 1-line block ×3, first 2 shown]
	v_mul_f64 v[156:157], v[152:153], s[26:27]
	s_mov_b32 s22, 0x370991
	v_add_f64 v[20:21], v[132:133], v[20:21]
	v_fma_f64 v[132:133], v[195:196], s[38:39], v[166:167]
	s_mov_b32 s23, 0x3fedd6d0
	v_add_f64 v[193:194], v[108:109], -v[24:25]
	s_mov_b32 s28, 0xeb564b22
	v_mul_f64 v[164:165], v[183:184], s[22:23]
	s_mov_b32 s29, 0xbfefdd0d
	v_mul_f64 v[48:49], v[152:153], s[28:29]
	s_mov_b32 s24, 0x3259b75e
	v_add_f64 v[22:23], v[132:133], v[22:23]
	v_fma_f64 v[132:133], v[181:182], s[22:23], -v[156:157]
	s_mov_b32 s25, 0x3fb79ee6
	v_mul_f64 v[239:240], v[183:184], s[24:25]
	v_add_f64 v[160:161], v[118:119], -v[30:31]
	v_add_f64 v[189:190], v[116:117], v[28:29]
	v_add_f64 v[191:192], v[118:119], v[30:31]
	v_add_f64 v[203:204], v[116:117], -v[28:29]
	s_mov_b32 s49, 0x3fe9895b
	v_add_f64 v[0:1], v[132:133], v[0:1]
	v_fma_f64 v[132:133], v[193:194], s[26:27], v[164:165]
	s_mov_b32 s48, s10
	v_mul_f64 v[50:51], v[160:161], s[18:19]
	v_mul_f64 v[52:53], v[160:161], s[48:49]
	v_mul_f64 v[60:61], v[191:192], s[8:9]
	v_mul_f64 v[249:250], v[191:192], s[2:3]
	v_add_f64 v[207:208], v[122:123], -v[10:11]
	s_mov_b32 s55, 0x3fefdd0d
	v_add_f64 v[2:3], v[132:133], v[2:3]
	v_fma_f64 v[132:133], v[181:182], s[24:25], -v[48:49]
	s_mov_b32 s54, s28
	v_add_f64 v[199:200], v[120:121], v[8:9]
	v_add_f64 v[201:202], v[122:123], v[10:11]
	v_add_f64 v[211:212], v[120:121], -v[8:9]
	v_mul_f64 v[62:63], v[207:208], s[54:55]
	v_mul_f64 v[243:244], v[207:208], s[26:27]
	v_add_f64 v[215:216], v[130:131], -v[86:87]
	v_add_f64 v[20:21], v[132:133], v[20:21]
	v_fma_f64 v[132:133], v[193:194], s[28:29], v[239:240]
	s_mov_b32 s40, 0x2a9d6da3
	v_mul_f64 v[241:242], v[201:202], s[24:25]
	v_mul_f64 v[245:246], v[201:202], s[22:23]
	s_mov_b32 s41, 0xbfe58eea
	v_add_f64 v[205:206], v[128:129], v[84:85]
	v_add_f64 v[209:210], v[130:131], v[86:87]
	v_mul_f64 v[247:248], v[215:216], s[40:41]
	v_add_f64 v[22:23], v[132:133], v[22:23]
	v_fma_f64 v[132:133], v[189:190], s[8:9], -v[50:51]
	s_mov_b32 s36, 0x75d4884
	s_mov_b32 s37, 0x3fe7a5f6
	v_add_f64 v[219:220], v[128:129], -v[84:85]
	s_mov_b32 s44, 0xacd6c6b4
	v_mul_f64 v[251:252], v[209:210], s[36:37]
	s_mov_b32 s45, 0xbfc7851a
	v_mul_f64 v[253:254], v[215:216], s[44:45]
	v_add_f64 v[0:1], v[132:133], v[0:1]
	v_fma_f64 v[132:133], v[203:204], s[18:19], v[60:61]
	s_mov_b32 s34, 0x7faef3
	s_mov_b32 s35, 0xbfef7484
	v_mul_f64 v[140:141], v[209:210], s[34:35]
	v_add_f64 v[227:228], v[126:127], -v[102:103]
	v_add_f64 v[213:214], v[124:125], v[100:101]
	v_add_f64 v[217:218], v[126:127], v[102:103]
	v_add_f64 v[225:226], v[124:125], -v[100:101]
	v_add_f64 v[2:3], v[132:133], v[2:3]
	v_fma_f64 v[132:133], v[189:190], s[2:3], -v[52:53]
	s_mov_b32 s51, 0x3fe58eea
	s_mov_b32 s50, s40
	v_mul_f64 v[142:143], v[227:228], s[44:45]
	v_add_f64 v[231:232], v[114:115], -v[106:107]
	v_mul_f64 v[144:145], v[217:218], s[34:35]
	v_mul_f64 v[146:147], v[217:218], s[36:37]
	v_add_f64 v[221:222], v[112:113], v[104:105]
	v_add_f64 v[20:21], v[132:133], v[20:21]
	v_fma_f64 v[132:133], v[203:204], s[48:49], v[249:250]
	v_add_f64 v[223:224], v[114:115], v[106:107]
	v_add_f64 v[229:230], v[112:113], -v[104:105]
	s_mov_b32 s47, 0xbfeec746
	s_mov_b32 s46, s30
	s_barrier
	v_add_f64 v[22:23], v[132:133], v[22:23]
	v_fma_f64 v[132:133], v[199:200], s[24:25], -v[62:63]
	v_mul_f64 v[148:149], v[223:224], s[20:21]
	v_add_f64 v[0:1], v[132:133], v[0:1]
	v_fma_f64 v[132:133], v[211:212], s[54:55], v[241:242]
	v_add_f64 v[2:3], v[132:133], v[2:3]
	v_fma_f64 v[132:133], v[199:200], s[22:23], -v[243:244]
	v_add_f64 v[20:21], v[132:133], v[20:21]
	v_fma_f64 v[132:133], v[211:212], s[26:27], v[245:246]
	v_add_f64 v[22:23], v[132:133], v[22:23]
	v_fma_f64 v[132:133], v[205:206], s[36:37], -v[247:248]
	;; [unrolled: 4-line block ×4, first 2 shown]
	v_add_f64 v[0:1], v[22:23], v[0:1]
	v_fma_f64 v[22:23], v[225:226], s[44:45], v[144:145]
	v_add_f64 v[2:3], v[22:23], v[2:3]
	v_mul_f64 v[22:23], v[227:228], s[50:51]
	v_fma_f64 v[134:135], v[213:214], s[36:37], -v[22:23]
	v_add_f64 v[136:137], v[134:135], v[20:21]
	v_fma_f64 v[20:21], v[225:226], s[50:51], v[146:147]
	v_add_f64 v[138:139], v[20:21], v[132:133]
	v_mul_f64 v[20:21], v[231:232], s[38:39]
	v_fma_f64 v[132:133], v[221:222], s[20:21], -v[20:21]
	v_add_f64 v[132:133], v[132:133], v[0:1]
	v_fma_f64 v[0:1], v[229:230], s[38:39], v[148:149]
	v_add_f64 v[134:135], v[0:1], v[2:3]
	v_mul_f64 v[0:1], v[231:232], s[46:47]
	v_mul_f64 v[2:3], v[223:224], s[16:17]
	v_fma_f64 v[4:5], v[221:222], s[16:17], -v[0:1]
	v_add_f64 v[136:137], v[4:5], v[136:137]
	v_fma_f64 v[4:5], v[229:230], s[46:47], v[2:3]
	v_add_f64 v[138:139], v[4:5], v[138:139]
	s_and_saveexec_b64 s[42:43], vcc
	s_cbranch_execz .LBB0_17
; %bb.16:
	buffer_store_dword v32, off, s[60:63], 0 offset:248 ; 4-byte Folded Spill
	s_nop 0
	buffer_store_dword v33, off, s[60:63], 0 offset:252 ; 4-byte Folded Spill
	buffer_store_dword v6, off, s[60:63], 0 offset:312 ; 4-byte Folded Spill
	s_nop 0
	buffer_store_dword v7, off, s[60:63], 0 offset:316 ; 4-byte Folded Spill
	v_mul_f64 v[4:5], v[185:186], s[44:45]
	s_mov_b32 s53, 0x3fd71e95
	s_mov_b32 s52, s26
	buffer_store_dword v8, off, s[60:63], 0 offset:36 ; 4-byte Folded Spill
	s_nop 0
	buffer_store_dword v9, off, s[60:63], 0 offset:40 ; 4-byte Folded Spill
	buffer_store_dword v10, off, s[60:63], 0 offset:44 ; 4-byte Folded Spill
	;; [unrolled: 1-line block ×4, first 2 shown]
	s_nop 0
	buffer_store_dword v13, off, s[60:63], 0 offset:268 ; 4-byte Folded Spill
	buffer_store_dword v14, off, s[60:63], 0 offset:272 ; 4-byte Folded Spill
	;; [unrolled: 1-line block ×3, first 2 shown]
	v_mul_f64 v[8:9], v[195:196], s[52:53]
	v_mul_f64 v[12:13], v[150:151], s[52:53]
	buffer_store_dword v150, off, s[60:63], 0 offset:336 ; 4-byte Folded Spill
	s_nop 0
	buffer_store_dword v151, off, s[60:63], 0 offset:340 ; 4-byte Folded Spill
	v_fma_f64 v[10:11], v[171:172], s[34:35], v[4:5]
	buffer_store_dword v16, off, s[60:63], 0 offset:280 ; 4-byte Folded Spill
	s_nop 0
	buffer_store_dword v17, off, s[60:63], 0 offset:284 ; 4-byte Folded Spill
	buffer_store_dword v18, off, s[60:63], 0 offset:288 ; 4-byte Folded Spill
	;; [unrolled: 1-line block ×3, first 2 shown]
	v_mul_f64 v[16:17], v[152:153], s[18:19]
	buffer_store_dword v152, off, s[60:63], 0 offset:320 ; 4-byte Folded Spill
	s_nop 0
	buffer_store_dword v153, off, s[60:63], 0 offset:324 ; 4-byte Folded Spill
	v_mul_f64 v[32:33], v[169:170], s[2:3]
	v_mul_f64 v[150:151], v[193:194], s[18:19]
	v_fma_f64 v[18:19], v[177:178], s[22:23], v[8:9]
	v_fma_f64 v[152:153], v[175:176], s[22:23], -v[12:13]
	v_add_f64 v[10:11], v[90:91], v[10:11]
	buffer_store_dword v32, off, s[60:63], 0 offset:360 ; 4-byte Folded Spill
	s_nop 0
	buffer_store_dword v33, off, s[60:63], 0 offset:364 ; 4-byte Folded Spill
	buffer_store_dword v156, off, s[60:63], 0 offset:344 ; 4-byte Folded Spill
	s_nop 0
	buffer_store_dword v157, off, s[60:63], 0 offset:348 ; 4-byte Folded Spill
	v_mul_f64 v[173:174], v[160:161], s[50:51]
	buffer_store_dword v160, off, s[60:63], 0 offset:328 ; 4-byte Folded Spill
	s_nop 0
	buffer_store_dword v161, off, s[60:63], 0 offset:332 ; 4-byte Folded Spill
	v_mul_f64 v[158:159], v[203:204], s[50:51]
	v_fma_f64 v[160:161], v[183:184], s[8:9], v[150:151]
	v_add_f64 v[10:11], v[18:19], v[10:11]
	v_fma_f64 v[18:19], v[181:182], s[8:9], -v[16:17]
	buffer_store_dword v50, off, s[60:63], 0 offset:352 ; 4-byte Folded Spill
	s_nop 0
	buffer_store_dword v51, off, s[60:63], 0 offset:356 ; 4-byte Folded Spill
	v_mov_b32_e32 v188, v163
	v_mov_b32_e32 v50, v164
	v_mul_f64 v[179:180], v[211:212], s[10:11]
	v_mov_b32_e32 v187, v162
	v_mul_f64 v[162:163], v[207:208], s[10:11]
	v_fma_f64 v[4:5], v[171:172], s[34:35], -v[4:5]
	v_mov_b32_e32 v51, v165
	v_fma_f64 v[164:165], v[191:192], s[36:37], v[158:159]
	v_add_f64 v[10:11], v[160:161], v[10:11]
	v_fma_f64 v[160:161], v[189:190], s[36:37], -v[173:174]
	v_fma_f64 v[8:9], v[177:178], s[22:23], -v[8:9]
	v_mov_b32_e32 v55, v53
	v_mov_b32_e32 v54, v52
	v_add_f64 v[4:5], v[90:91], v[4:5]
	v_mov_b32_e32 v52, v166
	v_mov_b32_e32 v53, v167
	v_add_f64 v[10:11], v[164:165], v[10:11]
	v_fma_f64 v[164:165], v[201:202], s[2:3], v[179:180]
	v_mul_f64 v[166:167], v[225:226], s[46:47]
	v_fma_f64 v[12:13], v[175:176], s[22:23], v[12:13]
	v_fma_f64 v[150:151], v[183:184], s[8:9], -v[150:151]
	v_add_f64 v[4:5], v[8:9], v[4:5]
	v_mul_f64 v[8:9], v[227:228], s[46:47]
	v_fma_f64 v[16:17], v[181:182], s[8:9], v[16:17]
	v_mov_b32_e32 v32, v40
	v_add_f64 v[10:11], v[164:165], v[10:11]
	v_mov_b32_e32 v33, v41
	v_mov_b32_e32 v34, v42
	;; [unrolled: 1-line block ×3, first 2 shown]
	v_add_f64 v[4:5], v[150:151], v[4:5]
	v_fma_f64 v[150:151], v[217:218], s[16:17], v[166:167]
	v_fma_f64 v[173:174], v[189:190], s[36:37], v[173:174]
	v_fma_f64 v[158:159], v[191:192], s[36:37], -v[158:159]
	v_fma_f64 v[179:180], v[201:202], s[2:3], -v[179:180]
	v_mul_f64 v[156:157], v[185:186], s[10:11]
	v_fma_f64 v[166:167], v[217:218], s[16:17], -v[166:167]
	s_mov_b32 s59, 0x3fe0d888
	s_mov_b32 s58, s18
	;; [unrolled: 1-line block ×4, first 2 shown]
	v_add_f64 v[4:5], v[158:159], v[4:5]
	v_mul_f64 v[158:159], v[185:186], s[18:19]
	v_add_f64 v[156:157], v[154:155], -v[156:157]
	v_mul_f64 v[154:155], v[205:206], s[34:35]
	v_add_f64 v[94:95], v[90:91], v[94:95]
	v_add_f64 v[92:93], v[88:89], v[92:93]
	;; [unrolled: 1-line block ×3, first 2 shown]
	v_add_f64 v[158:159], v[187:188], -v[158:159]
	v_mul_f64 v[6:7], v[6:7], s[44:45]
	v_add_f64 v[156:157], v[90:91], v[156:157]
	v_mul_f64 v[187:188], v[211:212], s[26:27]
	v_mul_f64 v[179:180], v[189:190], s[8:9]
	v_add_f64 v[92:93], v[92:93], v[96:97]
	v_add_f64 v[158:159], v[90:91], v[158:159]
	v_fma_f64 v[14:15], v[169:170], s[34:35], -v[6:7]
	v_fma_f64 v[6:7], v[169:170], s[34:35], v[6:7]
	v_add_f64 v[92:93], v[92:93], v[108:109]
	v_add_f64 v[14:15], v[88:89], v[14:15]
	;; [unrolled: 1-line block ×4, first 2 shown]
	v_mul_f64 v[116:117], v[215:216], s[10:11]
	v_add_f64 v[14:15], v[152:153], v[14:15]
	v_mul_f64 v[152:153], v[219:220], s[38:39]
	v_add_f64 v[6:7], v[12:13], v[6:7]
	;; [unrolled: 2-line block ×3, first 2 shown]
	v_mul_f64 v[18:19], v[215:216], s[38:39]
	v_fma_f64 v[164:165], v[209:210], s[20:21], v[152:153]
	v_add_f64 v[6:7], v[16:17], v[6:7]
	v_mul_f64 v[16:17], v[169:170], s[8:9]
	v_add_f64 v[14:15], v[160:161], v[14:15]
	v_fma_f64 v[160:161], v[199:200], s[2:3], -v[162:163]
	v_add_f64 v[10:11], v[164:165], v[10:11]
	v_fma_f64 v[164:165], v[213:214], s[16:17], -v[8:9]
	v_add_f64 v[16:17], v[16:17], v[44:45]
	v_add_f64 v[6:7], v[173:174], v[6:7]
	v_mul_f64 v[173:174], v[175:176], s[16:17]
	v_fma_f64 v[162:163], v[199:200], s[2:3], v[162:163]
	v_fma_f64 v[8:9], v[213:214], s[16:17], v[8:9]
	v_add_f64 v[14:15], v[160:161], v[14:15]
	v_fma_f64 v[160:161], v[205:206], s[20:21], -v[18:19]
	v_add_f64 v[10:11], v[150:151], v[10:11]
	v_fma_f64 v[150:151], v[223:224], s[24:25], v[12:13]
	v_fma_f64 v[18:19], v[205:206], s[20:21], v[18:19]
	v_add_f64 v[16:17], v[88:89], v[16:17]
	v_add_f64 v[6:7], v[162:163], v[6:7]
	v_mul_f64 v[162:163], v[181:182], s[22:23]
	v_fma_f64 v[12:13], v[223:224], s[24:25], -v[12:13]
	v_add_f64 v[14:15], v[160:161], v[14:15]
	v_mul_f64 v[160:161], v[231:232], s[54:55]
	v_add_f64 v[42:43], v[150:151], v[10:11]
	v_fma_f64 v[150:151], v[209:210], s[20:21], -v[152:153]
	v_mul_f64 v[152:153], v[195:196], s[38:39]
	v_mul_f64 v[10:11], v[195:196], s[30:31]
	v_add_f64 v[6:7], v[18:19], v[6:7]
	v_mul_f64 v[18:19], v[181:182], s[24:25]
	v_add_f64 v[14:15], v[164:165], v[14:15]
	v_fma_f64 v[164:165], v[221:222], s[24:25], -v[160:161]
	v_add_f64 v[4:5], v[150:151], v[4:5]
	v_mul_f64 v[150:151], v[193:194], s[28:29]
	v_add_f64 v[152:153], v[52:53], -v[152:153]
	v_add_f64 v[10:11], v[46:47], -v[10:11]
	v_add_f64 v[6:7], v[8:9], v[6:7]
	v_mul_f64 v[8:9], v[203:204], s[18:19]
	v_add_f64 v[40:41], v[164:165], v[14:15]
	v_mul_f64 v[164:165], v[193:194], s[26:27]
	v_add_f64 v[4:5], v[166:167], v[4:5]
	v_mul_f64 v[166:167], v[203:204], s[48:49]
	v_add_f64 v[150:151], v[239:240], -v[150:151]
	buffer_store_dword v40, off, s[60:63], 0 offset:296 ; 4-byte Folded Spill
	s_nop 0
	buffer_store_dword v41, off, s[60:63], 0 offset:300 ; 4-byte Folded Spill
	buffer_store_dword v42, off, s[60:63], 0 offset:304 ; 4-byte Folded Spill
	buffer_store_dword v43, off, s[60:63], 0 offset:308 ; 4-byte Folded Spill
	buffer_store_dword v233, off, s[60:63], 0 offset:232 ; 4-byte Folded Spill
	s_nop 0
	buffer_store_dword v234, off, s[60:63], 0 offset:236 ; 4-byte Folded Spill
	buffer_store_dword v235, off, s[60:63], 0 offset:240 ; 4-byte Folded Spill
	buffer_store_dword v236, off, s[60:63], 0 offset:244 ; 4-byte Folded Spill
	;; [unrolled: 5-line block ×4, first 2 shown]
	buffer_load_dword v28, off, s[60:63], 0 offset:360 ; 4-byte Folded Reload
	s_nop 0
	buffer_load_dword v29, off, s[60:63], 0 offset:364 ; 4-byte Folded Reload
	buffer_load_dword v44, off, s[60:63], 0 offset:248 ; 4-byte Folded Reload
	;; [unrolled: 1-line block ×3, first 2 shown]
	s_nop 0
	buffer_store_dword v36, off, s[60:63], 0 offset:248 ; 4-byte Folded Spill
	s_nop 0
	buffer_store_dword v37, off, s[60:63], 0 offset:252 ; 4-byte Folded Spill
	buffer_store_dword v38, off, s[60:63], 0 offset:256 ; 4-byte Folded Spill
	;; [unrolled: 1-line block ×3, first 2 shown]
	v_add_f64 v[152:153], v[152:153], v[158:159]
	v_add_f64 v[166:167], v[249:250], -v[166:167]
	v_add_f64 v[26:27], v[50:51], -v[164:165]
	v_add_f64 v[10:11], v[10:11], v[156:157]
	v_mul_f64 v[24:25], v[219:220], s[44:45]
	v_add_f64 v[8:9], v[60:61], -v[8:9]
	v_mul_f64 v[14:15], v[175:176], s[20:21]
	v_mul_f64 v[239:240], v[189:190], s[2:3]
	v_add_f64 v[150:151], v[150:151], v[152:153]
	v_add_f64 v[18:19], v[18:19], v[48:49]
	v_mul_f64 v[233:234], v[211:212], s[54:55]
	v_add_f64 v[10:11], v[26:27], v[10:11]
	v_add_f64 v[26:27], v[245:246], -v[187:188]
	v_mul_f64 v[249:250], v[199:200], s[22:23]
	v_add_f64 v[14:15], v[14:15], v[197:198]
	v_mul_f64 v[30:31], v[225:226], s[50:51]
	v_add_f64 v[150:151], v[166:167], v[150:151]
	v_add_f64 v[239:240], v[239:240], v[54:55]
	v_mul_f64 v[152:153], v[219:220], s[40:41]
	v_add_f64 v[8:9], v[8:9], v[10:11]
	v_add_f64 v[10:11], v[140:141], -v[24:25]
	v_mul_f64 v[36:37], v[229:230], s[46:47]
	v_add_f64 v[14:15], v[14:15], v[16:17]
	v_fma_f64 v[38:39], v[221:222], s[24:25], v[160:161]
	v_add_f64 v[24:25], v[26:27], v[150:151]
	v_add_f64 v[160:161], v[249:250], v[243:244]
	v_add_f64 v[166:167], v[241:242], -v[233:234]
	v_add_f64 v[30:31], v[146:147], -v[30:31]
	v_mul_f64 v[158:159], v[199:200], s[24:25]
	v_mul_f64 v[164:165], v[225:226], s[44:45]
	v_add_f64 v[14:15], v[18:19], v[14:15]
	v_mul_f64 v[156:157], v[213:214], s[36:37]
	v_add_f64 v[10:11], v[10:11], v[24:25]
	v_add_f64 v[26:27], v[154:155], v[253:254]
	v_add_f64 v[140:141], v[251:252], -v[152:153]
	v_add_f64 v[8:9], v[166:167], v[8:9]
	v_add_f64 v[2:3], v[2:3], -v[36:37]
	v_mov_b32_e32 v43, v35
	v_add_f64 v[14:15], v[239:240], v[14:15]
	v_mov_b32_e32 v42, v34
	v_add_f64 v[10:11], v[30:31], v[10:11]
	v_mov_b32_e32 v41, v33
	v_mov_b32_e32 v40, v32
	v_mul_f64 v[235:236], v[205:206], s[36:37]
	v_mul_f64 v[18:19], v[229:230], s[38:39]
	;; [unrolled: 1-line block ×3, first 2 shown]
	v_add_f64 v[14:15], v[160:161], v[14:15]
	v_add_f64 v[22:23], v[156:157], v[22:23]
	v_add_f64 v[24:25], v[144:145], -v[164:165]
	v_add_f64 v[8:9], v[140:141], v[8:9]
	v_mul_f64 v[16:17], v[213:214], s[34:35]
	v_mul_f64 v[32:33], v[221:222], s[20:21]
	v_add_f64 v[18:19], v[148:149], -v[18:19]
	v_add_f64 v[0:1], v[34:35], v[0:1]
	v_add_f64 v[14:15], v[26:27], v[14:15]
	;; [unrolled: 1-line block ×6, first 2 shown]
	v_mul_f64 v[6:7], v[195:196], s[58:59]
	v_mul_f64 v[24:25], v[203:204], s[56:57]
	;; [unrolled: 1-line block ×3, first 2 shown]
	v_add_f64 v[14:15], v[22:23], v[14:15]
	v_add_f64 v[22:23], v[235:236], v[247:248]
	v_mul_f64 v[235:236], v[215:216], s[30:31]
	v_add_f64 v[154:155], v[18:19], v[8:9]
	v_add_f64 v[8:9], v[32:33], v[20:21]
	v_fma_f64 v[18:19], v[177:178], s[8:9], v[6:7]
	v_mul_f64 v[32:33], v[211:212], s[44:45]
	v_fma_f64 v[34:35], v[191:192], s[20:21], v[24:25]
	v_add_f64 v[148:149], v[0:1], v[14:15]
	v_add_f64 v[0:1], v[16:17], v[142:143]
	v_mul_f64 v[16:17], v[193:194], s[50:51]
	v_fma_f64 v[6:7], v[177:178], s[8:9], -v[6:7]
	v_mul_f64 v[14:15], v[225:226], s[26:27]
	v_fma_f64 v[152:153], v[199:200], s[34:35], -v[140:141]
	v_fma_f64 v[24:25], v[191:192], s[20:21], -v[24:25]
	s_waitcnt vmcnt(6)
	v_add_f64 v[28:29], v[28:29], v[237:238]
	s_waitcnt vmcnt(4)
	v_add_f64 v[173:174], v[173:174], v[44:45]
	buffer_load_dword v44, off, s[60:63], 0 offset:344 ; 4-byte Folded Reload
	buffer_load_dword v45, off, s[60:63], 0 offset:348 ; 4-byte Folded Reload
	v_fma_f64 v[237:238], v[205:206], s[16:17], -v[235:236]
	v_mul_f64 v[239:240], v[229:230], s[52:53]
	v_add_f64 v[28:29], v[88:89], v[28:29]
	v_add_f64 v[28:29], v[173:174], v[28:29]
	s_waitcnt vmcnt(0)
	v_add_f64 v[162:163], v[162:163], v[44:45]
	buffer_load_dword v44, off, s[60:63], 0 offset:352 ; 4-byte Folded Reload
	buffer_load_dword v45, off, s[60:63], 0 offset:356 ; 4-byte Folded Reload
	v_add_f64 v[28:29], v[162:163], v[28:29]
	s_waitcnt vmcnt(0)
	v_add_f64 v[150:151], v[179:180], v[44:45]
	buffer_load_dword v44, off, s[60:63], 0 offset:312 ; 4-byte Folded Reload
	buffer_load_dword v45, off, s[60:63], 0 offset:316 ; 4-byte Folded Reload
	;; [unrolled: 1-line block ×8, first 2 shown]
	v_add_f64 v[28:29], v[150:151], v[28:29]
	v_add_f64 v[150:151], v[2:3], v[10:11]
	v_mul_f64 v[2:3], v[185:186], s[46:47]
	v_add_f64 v[26:27], v[26:27], v[28:29]
	v_fma_f64 v[12:13], v[171:172], s[16:17], v[2:3]
	v_fma_f64 v[2:3], v[171:172], s[16:17], -v[2:3]
	v_add_f64 v[4:5], v[22:23], v[26:27]
	v_fma_f64 v[26:27], v[183:184], s[36:37], v[16:17]
	v_add_f64 v[12:13], v[90:91], v[12:13]
	v_add_f64 v[2:3], v[90:91], v[2:3]
	v_fma_f64 v[16:17], v[183:184], s[36:37], -v[16:17]
	v_add_f64 v[0:1], v[0:1], v[4:5]
	v_mul_f64 v[4:5], v[229:230], s[10:11]
	v_add_f64 v[12:13], v[18:19], v[12:13]
	v_add_f64 v[2:3], v[6:7], v[2:3]
	v_fma_f64 v[18:19], v[217:218], s[22:23], v[14:15]
	v_add_f64 v[12:13], v[26:27], v[12:13]
	v_mul_f64 v[26:27], v[219:220], s[54:55]
	v_add_f64 v[2:3], v[16:17], v[2:3]
	v_mul_f64 v[16:17], v[231:232], s[10:11]
	v_add_f64 v[12:13], v[34:35], v[12:13]
	v_fma_f64 v[34:35], v[209:210], s[24:25], v[26:27]
	v_add_f64 v[2:3], v[24:25], v[2:3]
	v_fma_f64 v[24:25], v[209:210], s[24:25], -v[26:27]
	s_waitcnt vmcnt(6)
	v_mul_f64 v[10:11], v[44:45], s[46:47]
	s_waitcnt vmcnt(4)
	v_mul_f64 v[20:21], v[46:47], s[58:59]
	;; [unrolled: 2-line block ×4, first 2 shown]
	v_mov_b32_e32 v198, v174
	v_mov_b32_e32 v197, v173
	v_fma_f64 v[22:23], v[169:170], s[16:17], -v[10:11]
	v_fma_f64 v[30:31], v[175:176], s[8:9], -v[20:21]
	v_fma_f64 v[38:39], v[181:182], s[36:37], -v[28:29]
	v_fma_f64 v[142:143], v[189:190], s[20:21], -v[36:37]
	v_fma_f64 v[10:11], v[169:170], s[16:17], v[10:11]
	v_fma_f64 v[20:21], v[175:176], s[8:9], v[20:21]
	v_fma_f64 v[28:29], v[181:182], s[36:37], v[28:29]
	v_fma_f64 v[26:27], v[189:190], s[20:21], v[36:37]
	v_add_f64 v[22:23], v[88:89], v[22:23]
	v_mul_f64 v[36:37], v[207:208], s[56:57]
	v_add_f64 v[10:11], v[88:89], v[10:11]
	v_add_f64 v[22:23], v[30:31], v[22:23]
	v_fma_f64 v[30:31], v[201:202], s[34:35], v[32:33]
	v_fma_f64 v[32:33], v[201:202], s[34:35], -v[32:33]
	v_add_f64 v[10:11], v[20:21], v[10:11]
	v_fma_f64 v[20:21], v[223:224], s[2:3], v[4:5]
	v_fma_f64 v[4:5], v[223:224], s[2:3], -v[4:5]
	v_add_f64 v[22:23], v[38:39], v[22:23]
	v_mul_f64 v[38:39], v[215:216], s[54:55]
	v_add_f64 v[12:13], v[30:31], v[12:13]
	v_add_f64 v[2:3], v[32:33], v[2:3]
	;; [unrolled: 1-line block ×3, first 2 shown]
	v_mul_f64 v[28:29], v[245:246], s[30:31]
	v_add_f64 v[6:7], v[142:143], v[22:23]
	v_mul_f64 v[22:23], v[227:228], s[26:27]
	v_fma_f64 v[30:31], v[205:206], s[24:25], -v[38:39]
	v_add_f64 v[12:13], v[34:35], v[12:13]
	v_add_f64 v[2:3], v[24:25], v[2:3]
	;; [unrolled: 1-line block ×4, first 2 shown]
	v_fma_f64 v[34:35], v[213:214], s[22:23], -v[22:23]
	v_add_f64 v[152:153], v[8:9], v[0:1]
	v_add_f64 v[12:13], v[18:19], v[12:13]
	v_fma_f64 v[18:19], v[221:222], s[2:3], -v[16:17]
	v_fma_f64 v[0:1], v[217:218], s[22:23], -v[14:15]
	v_mul_f64 v[14:15], v[44:45], s[28:29]
	v_fma_f64 v[8:9], v[199:200], s[34:35], v[140:141]
	v_add_f64 v[6:7], v[30:31], v[6:7]
	v_fma_f64 v[140:141], v[199:200], s[20:21], -v[36:37]
	v_add_f64 v[158:159], v[20:21], v[12:13]
	v_mul_f64 v[12:13], v[185:186], s[28:29]
	v_add_f64 v[0:1], v[0:1], v[2:3]
	v_fma_f64 v[2:3], v[213:214], s[22:23], v[22:23]
	v_mul_f64 v[22:23], v[46:47], s[44:45]
	v_add_f64 v[6:7], v[34:35], v[6:7]
	v_fma_f64 v[24:25], v[169:170], s[24:25], -v[14:15]
	v_add_f64 v[8:9], v[8:9], v[10:11]
	v_mul_f64 v[10:11], v[193:194], s[30:31]
	v_fma_f64 v[20:21], v[171:172], s[24:25], v[12:13]
	v_fma_f64 v[12:13], v[171:172], s[24:25], -v[12:13]
	v_fma_f64 v[34:35], v[181:182], s[16:17], -v[28:29]
	;; [unrolled: 1-line block ×3, first 2 shown]
	v_add_f64 v[156:157], v[18:19], v[6:7]
	v_mul_f64 v[18:19], v[195:196], s[44:45]
	v_fma_f64 v[6:7], v[205:206], s[24:25], v[38:39]
	v_add_f64 v[24:25], v[88:89], v[24:25]
	v_add_f64 v[20:21], v[90:91], v[20:21]
	;; [unrolled: 1-line block ×3, first 2 shown]
	v_fma_f64 v[32:33], v[183:184], s[16:17], v[10:11]
	v_fma_f64 v[10:11], v[183:184], s[16:17], -v[10:11]
	v_fma_f64 v[14:15], v[169:170], s[24:25], v[14:15]
	v_fma_f64 v[26:27], v[177:178], s[34:35], v[18:19]
	v_fma_f64 v[18:19], v[177:178], s[34:35], -v[18:19]
	v_add_f64 v[6:7], v[6:7], v[8:9]
	v_fma_f64 v[8:9], v[221:222], s[2:3], v[16:17]
	v_mul_f64 v[16:17], v[203:204], s[52:53]
	v_add_f64 v[24:25], v[30:31], v[24:25]
	v_fma_f64 v[22:23], v[175:176], s[34:35], v[22:23]
	v_add_f64 v[14:15], v[88:89], v[14:15]
	v_add_f64 v[20:21], v[26:27], v[20:21]
	v_mul_f64 v[26:27], v[173:174], s[52:53]
	v_add_f64 v[12:13], v[18:19], v[12:13]
	v_add_f64 v[2:3], v[2:3], v[6:7]
	v_mul_f64 v[6:7], v[211:212], s[56:57]
	v_fma_f64 v[30:31], v[191:192], s[22:23], v[16:17]
	v_add_f64 v[24:25], v[34:35], v[24:25]
	v_fma_f64 v[16:17], v[191:192], s[22:23], -v[16:17]
	v_add_f64 v[20:21], v[32:33], v[20:21]
	v_fma_f64 v[38:39], v[189:190], s[22:23], -v[26:27]
	v_add_f64 v[10:11], v[10:11], v[12:13]
	v_mul_f64 v[32:33], v[219:220], s[18:19]
	v_fma_f64 v[34:35], v[201:202], s[20:21], v[6:7]
	v_mul_f64 v[18:19], v[215:216], s[18:19]
	v_fma_f64 v[6:7], v[201:202], s[20:21], -v[6:7]
	v_mul_f64 v[12:13], v[227:228], s[48:49]
	v_add_f64 v[20:21], v[30:31], v[20:21]
	v_add_f64 v[24:25], v[38:39], v[24:25]
	;; [unrolled: 1-line block ×3, first 2 shown]
	v_mul_f64 v[30:31], v[225:226], s[48:49]
	v_fma_f64 v[38:39], v[209:210], s[8:9], v[32:33]
	v_fma_f64 v[142:143], v[205:206], s[8:9], -v[18:19]
	v_fma_f64 v[32:33], v[209:210], s[8:9], -v[32:33]
	v_mul_f64 v[16:17], v[231:232], s[50:51]
	v_add_f64 v[20:21], v[34:35], v[20:21]
	v_add_f64 v[24:25], v[140:141], v[24:25]
	;; [unrolled: 1-line block ×3, first 2 shown]
	v_mul_f64 v[34:35], v[229:230], s[50:51]
	v_fma_f64 v[140:141], v[217:218], s[2:3], v[30:31]
	v_add_f64 v[166:167], v[4:5], v[0:1]
	v_fma_f64 v[0:1], v[181:182], s[16:17], v[28:29]
	v_add_f64 v[4:5], v[22:23], v[14:15]
	v_add_f64 v[20:21], v[38:39], v[20:21]
	v_fma_f64 v[38:39], v[213:214], s[2:3], -v[12:13]
	v_add_f64 v[24:25], v[142:143], v[24:25]
	v_fma_f64 v[14:15], v[217:218], s[2:3], -v[30:31]
	v_add_f64 v[6:7], v[32:33], v[6:7]
	v_fma_f64 v[142:143], v[223:224], s[36:37], v[34:35]
	v_add_f64 v[164:165], v[8:9], v[2:3]
	v_fma_f64 v[2:3], v[189:190], s[22:23], v[26:27]
	v_add_f64 v[10:11], v[140:141], v[20:21]
	v_fma_f64 v[20:21], v[221:222], s[36:37], -v[16:17]
	v_add_f64 v[24:25], v[38:39], v[24:25]
	v_mul_f64 v[8:9], v[185:186], s[56:57]
	v_add_f64 v[0:1], v[0:1], v[4:5]
	v_add_f64 v[6:7], v[14:15], v[6:7]
	v_mul_f64 v[14:15], v[44:45], s[56:57]
	s_mov_b32 s49, 0x3fc7851a
	v_add_f64 v[162:163], v[142:143], v[10:11]
	v_fma_f64 v[10:11], v[205:206], s[8:9], v[18:19]
	v_add_f64 v[160:161], v[20:21], v[24:25]
	v_fma_f64 v[18:19], v[199:200], s[20:21], v[36:37]
	v_mul_f64 v[20:21], v[195:196], s[10:11]
	v_fma_f64 v[22:23], v[171:172], s[20:21], v[8:9]
	v_add_f64 v[0:1], v[2:3], v[0:1]
	v_mul_f64 v[24:25], v[46:47], s[10:11]
	v_fma_f64 v[2:3], v[169:170], s[20:21], -v[14:15]
	s_mov_b32 s48, s44
	v_mul_f64 v[26:27], v[193:194], s[48:49]
	v_fma_f64 v[4:5], v[223:224], s[36:37], -v[34:35]
	v_fma_f64 v[28:29], v[177:178], s[2:3], v[20:21]
	v_add_f64 v[22:23], v[90:91], v[22:23]
	v_add_f64 v[0:1], v[18:19], v[0:1]
	v_mul_f64 v[18:19], v[245:246], s[48:49]
	v_fma_f64 v[30:31], v[175:176], s[2:3], -v[24:25]
	v_add_f64 v[2:3], v[88:89], v[2:3]
	v_mul_f64 v[32:33], v[203:204], s[30:31]
	v_fma_f64 v[34:35], v[183:184], s[34:35], v[26:27]
	v_fma_f64 v[8:9], v[171:172], s[20:21], -v[8:9]
	v_add_f64 v[22:23], v[28:29], v[22:23]
	v_add_f64 v[0:1], v[10:11], v[0:1]
	v_mul_f64 v[10:11], v[173:174], s[30:31]
	v_fma_f64 v[28:29], v[181:182], s[34:35], -v[18:19]
	v_add_f64 v[2:3], v[30:31], v[2:3]
	v_mul_f64 v[30:31], v[211:212], s[50:51]
	v_fma_f64 v[36:37], v[191:192], s[16:17], v[32:33]
	v_fma_f64 v[20:21], v[177:178], s[2:3], -v[20:21]
	v_add_f64 v[22:23], v[34:35], v[22:23]
	v_mul_f64 v[34:35], v[207:208], s[50:51]
	v_fma_f64 v[38:39], v[189:190], s[16:17], -v[10:11]
	v_add_f64 v[8:9], v[90:91], v[8:9]
	v_add_f64 v[2:3], v[28:29], v[2:3]
	v_mul_f64 v[28:29], v[219:220], s[26:27]
	v_fma_f64 v[140:141], v[201:202], s[36:37], v[30:31]
	v_fma_f64 v[26:27], v[183:184], s[34:35], -v[26:27]
	v_add_f64 v[22:23], v[36:37], v[22:23]
	v_mul_f64 v[36:37], v[215:216], s[26:27]
	v_fma_f64 v[142:143], v[199:200], s[36:37], -v[34:35]
	v_add_f64 v[8:9], v[20:21], v[8:9]
	;; [unrolled: 8-line block ×3, first 2 shown]
	v_add_f64 v[2:3], v[142:143], v[2:3]
	v_fma_f64 v[12:13], v[213:214], s[2:3], v[12:13]
	v_mul_f64 v[26:27], v[229:230], s[18:19]
	v_fma_f64 v[142:143], v[217:218], s[24:25], v[20:21]
	v_add_f64 v[22:23], v[38:39], v[22:23]
	v_fma_f64 v[179:180], v[213:214], s[24:25], -v[140:141]
	v_fma_f64 v[30:31], v[201:202], s[36:37], -v[30:31]
	v_add_f64 v[8:9], v[32:33], v[8:9]
	v_add_f64 v[2:3], v[173:174], v[2:3]
	v_add_f64 v[0:1], v[12:13], v[0:1]
	v_fma_f64 v[12:13], v[223:224], s[8:9], v[26:27]
	v_fma_f64 v[28:29], v[209:210], s[22:23], -v[28:29]
	v_add_f64 v[22:23], v[142:143], v[22:23]
	v_mul_f64 v[38:39], v[231:232], s[18:19]
	v_fma_f64 v[16:17], v[221:222], s[36:37], v[16:17]
	v_add_f64 v[8:9], v[30:31], v[8:9]
	v_add_f64 v[30:31], v[179:180], v[2:3]
	;; [unrolled: 1-line block ×3, first 2 shown]
	v_fma_f64 v[4:5], v[169:170], s[20:21], v[14:15]
	v_fma_f64 v[6:7], v[217:218], s[24:25], -v[20:21]
	v_add_f64 v[22:23], v[12:13], v[22:23]
	v_mul_f64 v[12:13], v[185:186], s[40:41]
	v_fma_f64 v[14:15], v[175:176], s[2:3], v[24:25]
	v_add_f64 v[8:9], v[28:29], v[8:9]
	v_fma_f64 v[32:33], v[221:222], s[8:9], -v[38:39]
	v_add_f64 v[0:1], v[16:17], v[0:1]
	v_add_f64 v[4:5], v[88:89], v[4:5]
	v_mul_f64 v[16:17], v[44:45], s[40:41]
	v_fma_f64 v[24:25], v[223:224], s[8:9], -v[26:27]
	v_mul_f64 v[26:27], v[195:196], s[28:29]
	v_fma_f64 v[28:29], v[171:172], s[36:37], v[12:13]
	v_add_f64 v[6:7], v[6:7], v[8:9]
	v_fma_f64 v[8:9], v[181:182], s[34:35], v[18:19]
	v_add_f64 v[20:21], v[32:33], v[30:31]
	v_add_f64 v[4:5], v[14:15], v[4:5]
	v_mul_f64 v[18:19], v[46:47], s[28:29]
	v_fma_f64 v[30:31], v[169:170], s[36:37], -v[16:17]
	v_fma_f64 v[32:33], v[177:178], s[24:25], v[26:27]
	v_add_f64 v[28:29], v[90:91], v[28:29]
	v_fma_f64 v[10:11], v[189:190], s[16:17], v[10:11]
	v_mul_f64 v[14:15], v[193:194], s[10:11]
	v_mul_f64 v[173:174], v[245:246], s[10:11]
	v_add_f64 v[4:5], v[8:9], v[4:5]
	v_fma_f64 v[142:143], v[175:176], s[24:25], -v[18:19]
	v_add_f64 v[30:31], v[88:89], v[30:31]
	v_mul_f64 v[8:9], v[203:204], s[44:45]
	v_add_f64 v[28:29], v[32:33], v[28:29]
	v_fma_f64 v[32:33], v[199:200], s[36:37], v[34:35]
	v_fma_f64 v[179:180], v[183:184], s[2:3], v[14:15]
	v_mul_f64 v[34:35], v[197:198], s[44:45]
	v_add_f64 v[4:5], v[10:11], v[4:5]
	v_fma_f64 v[187:188], v[181:182], s[2:3], -v[173:174]
	v_add_f64 v[30:31], v[142:143], v[30:31]
	v_fma_f64 v[36:37], v[205:206], s[22:23], v[36:37]
	v_fma_f64 v[142:143], v[191:192], s[34:35], v[8:9]
	;; [unrolled: 1-line block ×3, first 2 shown]
	v_add_f64 v[28:29], v[179:180], v[28:29]
	v_mul_f64 v[179:180], v[207:208], s[58:59]
	v_add_f64 v[4:5], v[32:33], v[4:5]
	v_fma_f64 v[233:234], v[189:190], s[34:35], -v[34:35]
	v_add_f64 v[30:31], v[187:188], v[30:31]
	v_fma_f64 v[38:39], v[221:222], s[8:9], v[38:39]
	v_fma_f64 v[12:13], v[171:172], s[36:37], -v[12:13]
	v_fma_f64 v[14:15], v[183:184], s[2:3], -v[14:15]
	v_add_f64 v[28:29], v[142:143], v[28:29]
	v_fma_f64 v[142:143], v[199:200], s[8:9], -v[179:180]
	v_add_f64 v[4:5], v[36:37], v[4:5]
	v_mul_f64 v[10:11], v[211:212], s[58:59]
	v_add_f64 v[30:31], v[233:234], v[30:31]
	v_mul_f64 v[32:33], v[219:220], s[30:31]
	v_fma_f64 v[16:17], v[169:170], s[36:37], v[16:17]
	v_fma_f64 v[8:9], v[191:192], s[34:35], -v[8:9]
	v_fma_f64 v[18:19], v[175:176], s[24:25], v[18:19]
	v_mul_f64 v[36:37], v[225:226], s[38:39]
	v_add_f64 v[4:5], v[140:141], v[4:5]
	v_fma_f64 v[187:188], v[201:202], s[8:9], v[10:11]
	v_add_f64 v[30:31], v[142:143], v[30:31]
	v_add_f64 v[142:143], v[24:25], v[6:7]
	;; [unrolled: 1-line block ×3, first 2 shown]
	v_fma_f64 v[233:234], v[209:210], s[16:17], v[32:33]
	v_fma_f64 v[10:11], v[201:202], s[8:9], -v[10:11]
	v_add_f64 v[16:17], v[88:89], v[16:17]
	v_add_f64 v[140:141], v[38:39], v[4:5]
	v_fma_f64 v[4:5], v[177:178], s[24:25], -v[26:27]
	v_mul_f64 v[38:39], v[185:186], s[26:27]
	v_add_f64 v[28:29], v[187:188], v[28:29]
	v_mul_f64 v[187:188], v[227:228], s[38:39]
	v_fma_f64 v[241:242], v[217:218], s[20:21], v[36:37]
	v_add_f64 v[30:31], v[237:238], v[30:31]
	v_add_f64 v[16:17], v[18:19], v[16:17]
	v_mul_f64 v[18:19], v[193:194], s[56:57]
	v_add_f64 v[4:5], v[4:5], v[6:7]
	v_fma_f64 v[6:7], v[209:210], s[16:17], -v[32:33]
	v_mul_f64 v[32:33], v[195:196], s[40:41]
	v_fma_f64 v[185:186], v[171:172], s[22:23], v[38:39]
	v_fma_f64 v[243:244], v[213:214], s[20:21], -v[187:188]
	v_fma_f64 v[36:37], v[217:218], s[20:21], -v[36:37]
	v_add_f64 v[28:29], v[233:234], v[28:29]
	v_mul_f64 v[233:234], v[231:232], s[52:53]
	v_add_f64 v[4:5], v[14:15], v[4:5]
	v_fma_f64 v[14:15], v[181:182], s[2:3], v[173:174]
	v_fma_f64 v[173:174], v[177:178], s[36:37], v[32:33]
	v_add_f64 v[185:186], v[90:91], v[185:186]
	v_add_f64 v[26:27], v[243:244], v[30:31]
	v_fma_f64 v[30:31], v[223:224], s[22:23], -v[239:240]
	v_fma_f64 v[38:39], v[171:172], s[22:23], -v[38:39]
	v_fma_f64 v[12:13], v[221:222], s[22:23], -v[233:234]
	v_add_f64 v[4:5], v[8:9], v[4:5]
	v_fma_f64 v[8:9], v[189:190], s[34:35], v[34:35]
	v_add_f64 v[34:35], v[94:95], v[98:99]
	v_add_f64 v[14:15], v[14:15], v[16:17]
	v_mul_f64 v[16:17], v[203:204], s[28:29]
	v_fma_f64 v[94:95], v[183:184], s[20:21], v[18:19]
	v_add_f64 v[96:97], v[173:174], v[185:186]
	v_fma_f64 v[32:33], v[177:178], s[36:37], -v[32:33]
	v_add_f64 v[4:5], v[10:11], v[4:5]
	v_add_f64 v[38:39], v[90:91], v[38:39]
	v_add_f64 v[34:35], v[34:35], v[110:111]
	v_mul_f64 v[110:111], v[44:45], s[26:27]
	v_fma_f64 v[98:99], v[191:192], s[24:25], v[16:17]
	v_fma_f64 v[18:19], v[183:184], s[20:21], -v[18:19]
	v_add_f64 v[94:95], v[94:95], v[96:97]
	v_fma_f64 v[10:11], v[199:200], s[8:9], v[179:180]
	v_add_f64 v[4:5], v[6:7], v[4:5]
	v_fma_f64 v[6:7], v[205:206], s[16:17], v[235:236]
	v_add_f64 v[34:35], v[34:35], v[118:119]
	v_add_f64 v[32:33], v[32:33], v[38:39]
	;; [unrolled: 1-line block ×3, first 2 shown]
	v_mul_f64 v[14:15], v[211:212], s[46:47]
	v_add_f64 v[94:95], v[98:99], v[94:95]
	v_add_f64 v[98:99], v[92:93], v[120:121]
	;; [unrolled: 1-line block ×3, first 2 shown]
	v_fma_f64 v[36:37], v[213:214], s[20:21], v[187:188]
	buffer_load_dword v187, off, s[60:63], 0 ; 4-byte Folded Reload
	v_add_f64 v[34:35], v[34:35], v[122:123]
	v_mul_f64 v[122:123], v[46:47], s[40:41]
	v_mul_f64 v[120:121], v[197:198], s[28:29]
	v_fma_f64 v[16:17], v[191:192], s[24:25], -v[16:17]
	v_add_f64 v[18:19], v[18:19], v[32:33]
	v_add_f64 v[92:93], v[30:31], v[4:5]
	v_fma_f64 v[30:31], v[221:222], s[22:23], v[233:234]
	buffer_load_dword v233, off, s[60:63], 0 offset:232 ; 4-byte Folded Reload
	buffer_load_dword v234, off, s[60:63], 0 offset:236 ; 4-byte Folded Reload
	;; [unrolled: 1-line block ×8, first 2 shown]
	v_add_f64 v[4:5], v[34:35], v[130:131]
	v_add_f64 v[34:35], v[98:99], v[128:129]
	v_fma_f64 v[90:91], v[175:176], s[36:37], v[122:123]
	v_add_f64 v[8:9], v[10:11], v[8:9]
	v_mul_f64 v[10:11], v[219:220], s[10:11]
	v_fma_f64 v[96:97], v[201:202], s[16:17], v[14:15]
	v_mul_f64 v[118:119], v[207:208], s[46:47]
	v_fma_f64 v[32:33], v[189:190], s[24:25], v[120:121]
	v_add_f64 v[4:5], v[4:5], v[126:127]
	v_add_f64 v[34:35], v[34:35], v[124:125]
	v_fma_f64 v[14:15], v[201:202], s[16:17], -v[14:15]
	v_add_f64 v[16:17], v[16:17], v[18:19]
	v_add_f64 v[6:7], v[6:7], v[8:9]
	v_mul_f64 v[8:9], v[225:226], s[18:19]
	v_fma_f64 v[108:109], v[209:210], s[2:3], v[10:11]
	v_add_f64 v[94:95], v[96:97], v[94:95]
	v_add_f64 v[4:5], v[4:5], v[114:115]
	;; [unrolled: 1-line block ×3, first 2 shown]
	v_fma_f64 v[112:113], v[169:170], s[22:23], v[110:111]
	v_fma_f64 v[110:111], v[169:170], s[22:23], -v[110:111]
	v_mul_f64 v[114:115], v[245:246], s[56:57]
	v_fma_f64 v[18:19], v[199:200], s[16:17], v[118:119]
	v_fma_f64 v[10:11], v[209:210], s[2:3], -v[10:11]
	v_add_f64 v[14:15], v[14:15], v[16:17]
	v_add_f64 v[4:5], v[4:5], v[106:107]
	;; [unrolled: 1-line block ×4, first 2 shown]
	v_fma_f64 v[106:107], v[175:176], s[36:37], -v[122:123]
	v_add_f64 v[88:89], v[88:89], v[110:111]
	v_fma_f64 v[38:39], v[181:182], s[20:21], v[114:115]
	v_add_f64 v[36:37], v[36:37], v[6:7]
	v_mul_f64 v[6:7], v[229:230], s[44:45]
	v_add_f64 v[4:5], v[4:5], v[102:103]
	v_add_f64 v[34:35], v[34:35], v[100:101]
	;; [unrolled: 1-line block ×3, first 2 shown]
	v_fma_f64 v[100:101], v[181:182], s[20:21], -v[114:115]
	v_add_f64 v[88:89], v[106:107], v[88:89]
	v_fma_f64 v[96:97], v[217:218], s[8:9], v[8:9]
	v_add_f64 v[94:95], v[108:109], v[94:95]
	v_mul_f64 v[108:109], v[227:228], s[18:19]
	v_add_f64 v[4:5], v[4:5], v[86:87]
	v_add_f64 v[34:35], v[34:35], v[84:85]
	;; [unrolled: 1-line block ×3, first 2 shown]
	v_fma_f64 v[84:85], v[189:190], s[24:25], -v[120:121]
	v_add_f64 v[86:87], v[100:101], v[88:89]
	v_fma_f64 v[16:17], v[205:206], s[2:3], v[116:117]
	v_fma_f64 v[8:9], v[217:218], s[8:9], -v[8:9]
	v_add_f64 v[10:11], v[10:11], v[14:15]
	v_fma_f64 v[14:15], v[213:214], s[8:9], v[108:109]
	v_mul_f64 v[98:99], v[231:232], s[44:45]
	v_add_f64 v[32:33], v[32:33], v[38:39]
	v_fma_f64 v[38:39], v[199:200], s[16:17], -v[118:119]
	v_add_f64 v[84:85], v[84:85], v[86:87]
	v_fma_f64 v[24:25], v[223:224], s[22:23], v[239:240]
	v_add_f64 v[28:29], v[241:242], v[28:29]
	v_add_f64 v[8:9], v[8:9], v[10:11]
	;; [unrolled: 1-line block ×5, first 2 shown]
	v_fma_f64 v[32:33], v[205:206], s[2:3], -v[116:117]
	v_add_f64 v[38:39], v[38:39], v[84:85]
	v_fma_f64 v[84:85], v[221:222], s[34:35], v[98:99]
	v_add_f64 v[16:17], v[16:17], v[18:19]
	v_fma_f64 v[18:19], v[213:214], s[8:9], -v[108:109]
	v_add_f64 v[32:33], v[32:33], v[38:39]
	v_fma_f64 v[38:39], v[223:224], s[34:35], -v[6:7]
	v_add_f64 v[14:15], v[14:15], v[16:17]
	v_fma_f64 v[16:17], v[223:224], s[34:35], v[6:7]
	v_add_f64 v[32:33], v[18:19], v[32:33]
	v_add_f64 v[6:7], v[38:39], v[8:9]
	s_waitcnt vmcnt(0)
	v_add_f64 v[4:5], v[4:5], v[46:47]
	v_add_f64 v[34:35], v[34:35], v[44:45]
	buffer_load_dword v44, off, s[60:63], 0 offset:20 ; 4-byte Folded Reload
	buffer_load_dword v45, off, s[60:63], 0 offset:24 ; 4-byte Folded Reload
	buffer_load_dword v46, off, s[60:63], 0 offset:28 ; 4-byte Folded Reload
	buffer_load_dword v47, off, s[60:63], 0 offset:32 ; 4-byte Folded Reload
	s_waitcnt vmcnt(0)
	v_add_f64 v[4:5], v[4:5], v[46:47]
	v_add_f64 v[34:35], v[34:35], v[44:45]
	buffer_load_dword v44, off, s[60:63], 0 offset:4 ; 4-byte Folded Reload
	buffer_load_dword v45, off, s[60:63], 0 offset:8 ; 4-byte Folded Reload
	;; [unrolled: 1-line block ×16, first 2 shown]
	s_waitcnt vmcnt(12)
	v_add_f64 v[4:5], v[4:5], v[46:47]
	v_add_f64 v[34:35], v[34:35], v[44:45]
	s_waitcnt vmcnt(8)
	v_add_f64 v[4:5], v[4:5], v[88:89]
	v_add_f64 v[34:35], v[34:35], v[86:87]
	;; [unrolled: 1-line block ×3, first 2 shown]
	v_fma_f64 v[88:89], v[221:222], s[34:35], -v[98:99]
	s_waitcnt vmcnt(4)
	v_add_f64 v[10:11], v[4:5], v[10:11]
	v_add_f64 v[4:5], v[84:85], v[14:15]
	;; [unrolled: 1-line block ×3, first 2 shown]
	buffer_load_dword v24, off, s[60:63], 0 offset:52 ; 4-byte Folded Reload
	buffer_load_dword v25, off, s[60:63], 0 offset:68 ; 4-byte Folded Reload
	v_add_f64 v[8:9], v[34:35], v[8:9]
	v_add_f64 v[18:19], v[16:17], v[86:87]
	;; [unrolled: 1-line block ×3, first 2 shown]
	s_waitcnt vmcnt(0)
	v_lshl_add_u32 v24, v25, 4, v24
	ds_write_b128 v24, v[8:11]
	ds_write_b128 v24, v[4:7] offset:16
	ds_write_b128 v24, v[90:93] offset:32
	;; [unrolled: 1-line block ×8, first 2 shown]
	buffer_load_dword v0, off, s[60:63], 0 offset:296 ; 4-byte Folded Reload
	buffer_load_dword v1, off, s[60:63], 0 offset:300 ; 4-byte Folded Reload
	;; [unrolled: 1-line block ×4, first 2 shown]
	s_waitcnt vmcnt(0)
	ds_write_b128 v24, v[0:3] offset:144
	ds_write_b128 v24, v[136:139] offset:160
	;; [unrolled: 1-line block ×8, first 2 shown]
.LBB0_17:
	s_or_b64 exec, exec, s[42:43]
	s_waitcnt lgkmcnt(0)
	s_barrier
	ds_read_b128 v[16:19], v255
	ds_read_b128 v[4:7], v255 offset:544
	ds_read_b128 v[96:99], v255 offset:3536
	;; [unrolled: 1-line block ×9, first 2 shown]
	s_and_saveexec_b64 s[2:3], s[0:1]
	s_cbranch_execz .LBB0_19
; %bb.18:
	ds_read_b128 v[136:139], v255 offset:2720
	ds_read_b128 v[132:135], v255 offset:5712
.LBB0_19:
	s_or_b64 exec, exec, s[2:3]
	buffer_load_dword v104, off, s[60:63], 0 offset:72 ; 4-byte Folded Reload
	buffer_load_dword v105, off, s[60:63], 0 offset:76 ; 4-byte Folded Reload
	;; [unrolled: 1-line block ×4, first 2 shown]
	s_waitcnt lgkmcnt(3)
	v_mul_f64 v[20:21], v[38:39], v[102:103]
	v_mul_f64 v[22:23], v[38:39], v[100:101]
	s_waitcnt lgkmcnt(0)
	v_mul_f64 v[38:39], v[42:43], v[88:89]
	buffer_load_dword v110, off, s[60:63], 0 offset:104 ; 4-byte Folded Reload
	buffer_load_dword v111, off, s[60:63], 0 offset:108 ; 4-byte Folded Reload
	;; [unrolled: 1-line block ×4, first 2 shown]
	v_fma_f64 v[20:21], v[36:37], v[100:101], v[20:21]
	v_fma_f64 v[22:23], v[36:37], v[102:103], -v[22:23]
	v_mul_f64 v[36:37], v[42:43], v[90:91]
	v_fma_f64 v[38:39], v[40:41], v[90:91], -v[38:39]
	v_add_f64 v[20:21], v[16:17], -v[20:21]
	v_add_f64 v[22:23], v[18:19], -v[22:23]
	v_fma_f64 v[36:37], v[40:41], v[88:89], v[36:37]
	v_add_f64 v[38:39], v[2:3], -v[38:39]
	v_fma_f64 v[16:17], v[16:17], 2.0, -v[20:21]
	v_fma_f64 v[18:19], v[18:19], 2.0, -v[22:23]
	v_add_f64 v[36:37], v[0:1], -v[36:37]
	v_fma_f64 v[2:3], v[2:3], 2.0, -v[38:39]
	v_fma_f64 v[0:1], v[0:1], 2.0, -v[36:37]
	s_waitcnt vmcnt(4)
	v_mul_f64 v[24:25], v[106:107], v[98:99]
	v_mul_f64 v[26:27], v[106:107], v[96:97]
	buffer_load_dword v106, off, s[60:63], 0 offset:88 ; 4-byte Folded Reload
	buffer_load_dword v107, off, s[60:63], 0 offset:92 ; 4-byte Folded Reload
	;; [unrolled: 1-line block ×4, first 2 shown]
	s_waitcnt vmcnt(0)
	s_barrier
	buffer_load_dword v40, off, s[60:63], 0 offset:136 ; 4-byte Folded Reload
	v_mul_f64 v[28:29], v[112:113], v[86:87]
	v_fma_f64 v[24:25], v[104:105], v[96:97], v[24:25]
	v_fma_f64 v[26:27], v[104:105], v[98:99], -v[26:27]
	v_mul_f64 v[30:31], v[112:113], v[84:85]
	s_waitcnt vmcnt(0)
	ds_write_b128 v40, v[16:19]
	ds_write_b128 v40, v[20:23] offset:272
	buffer_load_dword v16, off, s[60:63], 0 offset:128 ; 4-byte Folded Reload
	v_add_f64 v[24:25], v[4:5], -v[24:25]
	v_add_f64 v[26:27], v[6:7], -v[26:27]
	v_fma_f64 v[28:29], v[110:111], v[84:85], v[28:29]
	v_fma_f64 v[30:31], v[110:111], v[86:87], -v[30:31]
	v_mul_f64 v[32:33], v[108:109], v[94:95]
	v_mul_f64 v[34:35], v[108:109], v[92:93]
	v_fma_f64 v[4:5], v[4:5], 2.0, -v[24:25]
	v_fma_f64 v[6:7], v[6:7], 2.0, -v[26:27]
	v_add_f64 v[28:29], v[12:13], -v[28:29]
	v_add_f64 v[30:31], v[14:15], -v[30:31]
	v_fma_f64 v[32:33], v[106:107], v[92:93], v[32:33]
	v_fma_f64 v[34:35], v[106:107], v[94:95], -v[34:35]
	s_waitcnt vmcnt(0)
	ds_write_b128 v16, v[4:7]
	ds_write_b128 v16, v[24:27] offset:272
	buffer_load_dword v4, off, s[60:63], 0 offset:120 ; 4-byte Folded Reload
	v_fma_f64 v[12:13], v[12:13], 2.0, -v[28:29]
	v_fma_f64 v[14:15], v[14:15], 2.0, -v[30:31]
	v_add_f64 v[32:33], v[8:9], -v[32:33]
	v_add_f64 v[34:35], v[10:11], -v[34:35]
	s_waitcnt vmcnt(0)
	ds_write_b128 v4, v[12:15]
	ds_write_b128 v4, v[28:31] offset:272
	buffer_load_dword v4, off, s[60:63], 0 offset:144 ; 4-byte Folded Reload
	v_fma_f64 v[8:9], v[8:9], 2.0, -v[32:33]
	v_fma_f64 v[10:11], v[10:11], 2.0, -v[34:35]
	s_waitcnt vmcnt(0)
	ds_write_b128 v4, v[8:11]
	ds_write_b128 v4, v[32:35] offset:272
	buffer_load_dword v4, off, s[60:63], 0 offset:152 ; 4-byte Folded Reload
	s_waitcnt vmcnt(0)
	ds_write_b128 v4, v[0:3]
	ds_write_b128 v4, v[36:39] offset:272
	s_and_saveexec_b64 s[2:3], s[0:1]
	s_cbranch_execz .LBB0_21
; %bb.20:
	buffer_load_dword v8, off, s[60:63], 0 offset:224 ; 4-byte Folded Reload
	buffer_load_dword v9, off, s[60:63], 0 offset:52 ; 4-byte Folded Reload
	v_mul_f64 v[0:1], v[235:236], v[132:133]
	v_mul_f64 v[2:3], v[235:236], v[134:135]
	v_fma_f64 v[0:1], v[233:234], v[134:135], -v[0:1]
	v_fma_f64 v[4:5], v[233:234], v[132:133], v[2:3]
	v_add_f64 v[2:3], v[138:139], -v[0:1]
	v_add_f64 v[0:1], v[136:137], -v[4:5]
	v_fma_f64 v[6:7], v[138:139], 2.0, -v[2:3]
	v_fma_f64 v[4:5], v[136:137], 2.0, -v[0:1]
	s_waitcnt vmcnt(1)
	v_and_b32_e32 v8, 0xff, v8
	s_waitcnt vmcnt(0)
	v_lshl_add_u32 v8, v8, 4, v9
	ds_write_b128 v8, v[4:7] offset:5440
	ds_write_b128 v8, v[0:3] offset:5712
.LBB0_21:
	s_or_b64 exec, exec, s[2:3]
	s_waitcnt lgkmcnt(0)
	s_barrier
	ds_read_b128 v[0:3], v255 offset:544
	ds_read_b128 v[8:11], v255 offset:1632
	ds_read_b128 v[4:7], v255 offset:1088
	s_mov_b32 s10, 0xf8bb580b
	s_mov_b32 s11, 0xbfe14ced
	s_waitcnt lgkmcnt(2)
	v_mul_f64 v[12:13], v[82:83], v[2:3]
	v_mul_f64 v[14:15], v[82:83], v[0:1]
	s_waitcnt lgkmcnt(1)
	v_mul_f64 v[20:21], v[58:59], v[10:11]
	v_mul_f64 v[22:23], v[58:59], v[8:9]
	s_mov_b32 s8, 0x8764f0ba
	s_mov_b32 s0, 0x8eee2c13
	;; [unrolled: 1-line block ×4, first 2 shown]
	v_fma_f64 v[28:29], v[80:81], v[0:1], v[12:13]
	v_fma_f64 v[30:31], v[80:81], v[2:3], -v[14:15]
	ds_read_b128 v[12:15], v255
	s_waitcnt lgkmcnt(1)
	v_mul_f64 v[16:17], v[74:75], v[6:7]
	v_mul_f64 v[18:19], v[74:75], v[4:5]
	ds_read_b128 v[0:3], v255 offset:2176
	v_fma_f64 v[36:37], v[56:57], v[8:9], v[20:21]
	v_fma_f64 v[38:39], v[56:57], v[10:11], -v[22:23]
	s_mov_b32 s22, 0x640f44db
	s_mov_b32 s26, 0xbb3a28a1
	;; [unrolled: 1-line block ×3, first 2 shown]
	v_fma_f64 v[32:33], v[72:73], v[4:5], v[16:17]
	v_fma_f64 v[34:35], v[72:73], v[6:7], -v[18:19]
	ds_read_b128 v[4:7], v255 offset:2720
	buffer_load_dword v44, off, s[60:63], 0 offset:176 ; 4-byte Folded Reload
	buffer_load_dword v45, off, s[60:63], 0 offset:180 ; 4-byte Folded Reload
	;; [unrolled: 1-line block ×4, first 2 shown]
	s_waitcnt lgkmcnt(2)
	v_add_f64 v[16:17], v[12:13], v[28:29]
	v_add_f64 v[18:19], v[14:15], v[30:31]
	s_mov_b32 s34, 0xfd768dbf
	s_waitcnt lgkmcnt(0)
	v_mul_f64 v[40:41], v[78:79], v[6:7]
	v_mul_f64 v[42:43], v[78:79], v[4:5]
	s_mov_b32 s36, 0x9bcd5057
	s_mov_b32 s9, 0x3feaeb8c
	s_mov_b32 s1, 0xbfed1bb4
	v_add_f64 v[20:21], v[16:17], v[32:33]
	v_add_f64 v[22:23], v[18:19], v[34:35]
	ds_read_b128 v[8:11], v255 offset:3264
	ds_read_b128 v[16:19], v255 offset:3808
	v_fma_f64 v[4:5], v[76:77], v[4:5], v[40:41]
	v_fma_f64 v[6:7], v[76:77], v[6:7], -v[42:43]
	s_mov_b32 s3, 0x3fda9628
	s_mov_b32 s19, 0xbfefac9e
	;; [unrolled: 1-line block ×3, first 2 shown]
	v_add_f64 v[56:57], v[20:21], v[36:37]
	v_add_f64 v[58:59], v[22:23], v[38:39]
	s_mov_b32 s27, 0xbfe82f19
	s_mov_b32 s29, 0xbfe4f49e
	;; [unrolled: 1-line block ×14, first 2 shown]
	s_waitcnt vmcnt(0)
	v_mul_f64 v[24:25], v[46:47], v[2:3]
	v_mul_f64 v[26:27], v[46:47], v[0:1]
	v_fma_f64 v[50:51], v[44:45], v[0:1], v[24:25]
	v_fma_f64 v[48:49], v[44:45], v[2:3], -v[26:27]
	ds_read_b128 v[0:3], v255 offset:4352
	ds_read_b128 v[20:23], v255 offset:4896
	;; [unrolled: 1-line block ×3, first 2 shown]
	buffer_load_dword v44, off, s[60:63], 0 offset:208 ; 4-byte Folded Reload
	buffer_load_dword v45, off, s[60:63], 0 offset:212 ; 4-byte Folded Reload
	;; [unrolled: 1-line block ×8, first 2 shown]
	v_add_f64 v[40:41], v[56:57], v[50:51]
	v_add_f64 v[42:43], v[58:59], v[48:49]
	s_waitcnt lgkmcnt(0)
	v_mul_f64 v[58:59], v[70:71], v[24:25]
	v_add_f64 v[40:41], v[40:41], v[4:5]
	v_add_f64 v[42:43], v[42:43], v[6:7]
	s_waitcnt vmcnt(4)
	v_mul_f64 v[72:73], v[46:47], v[10:11]
	v_mul_f64 v[62:63], v[46:47], v[8:9]
	s_waitcnt vmcnt(0)
	v_mul_f64 v[56:57], v[54:55], v[18:19]
	v_mul_f64 v[54:55], v[54:55], v[16:17]
	v_fma_f64 v[8:9], v[44:45], v[8:9], v[72:73]
	v_fma_f64 v[10:11], v[44:45], v[10:11], -v[62:63]
	buffer_load_dword v44, off, s[60:63], 0 offset:160 ; 4-byte Folded Reload
	buffer_load_dword v45, off, s[60:63], 0 offset:164 ; 4-byte Folded Reload
	buffer_load_dword v46, off, s[60:63], 0 offset:168 ; 4-byte Folded Reload
	buffer_load_dword v47, off, s[60:63], 0 offset:172 ; 4-byte Folded Reload
	v_fma_f64 v[16:17], v[52:53], v[16:17], v[56:57]
	v_fma_f64 v[18:19], v[52:53], v[18:19], -v[54:55]
	v_mul_f64 v[52:53], v[70:71], v[26:27]
	v_fma_f64 v[26:27], v[68:69], v[26:27], -v[58:59]
	v_mul_f64 v[54:55], v[66:67], v[22:23]
	v_add_f64 v[40:41], v[40:41], v[8:9]
	v_add_f64 v[42:43], v[42:43], v[10:11]
	v_mul_f64 v[56:57], v[66:67], v[20:21]
	v_fma_f64 v[24:25], v[68:69], v[24:25], v[52:53]
	v_fma_f64 v[20:21], v[64:65], v[20:21], v[54:55]
	v_fma_f64 v[22:23], v[64:65], v[22:23], -v[56:57]
	v_add_f64 v[84:85], v[32:33], v[20:21]
	v_add_f64 v[80:81], v[34:35], -v[22:23]
	s_waitcnt vmcnt(0)
	v_mul_f64 v[60:61], v[46:47], v[2:3]
	v_mul_f64 v[46:47], v[46:47], v[0:1]
	v_fma_f64 v[58:59], v[44:45], v[0:1], v[60:61]
	v_fma_f64 v[44:45], v[44:45], v[2:3], -v[46:47]
	v_add_f64 v[0:1], v[40:41], v[16:17]
	v_add_f64 v[2:3], v[42:43], v[18:19]
	v_add_f64 v[40:41], v[30:31], -v[26:27]
	v_add_f64 v[30:31], v[30:31], v[26:27]
	v_add_f64 v[42:43], v[28:29], v[24:25]
	v_add_f64 v[28:29], v[28:29], -v[24:25]
	v_add_f64 v[0:1], v[0:1], v[58:59]
	v_add_f64 v[2:3], v[2:3], v[44:45]
	v_mul_f64 v[46:47], v[40:41], s[10:11]
	v_mul_f64 v[52:53], v[30:31], s[8:9]
	;; [unrolled: 1-line block ×6, first 2 shown]
	v_add_f64 v[0:1], v[0:1], v[20:21]
	v_add_f64 v[2:3], v[2:3], v[22:23]
	v_fma_f64 v[54:55], v[42:43], s[8:9], v[46:47]
	v_mul_f64 v[70:71], v[40:41], s[26:27]
	v_mul_f64 v[72:73], v[30:31], s[28:29]
	v_mul_f64 v[40:41], v[40:41], s[34:35]
	v_mul_f64 v[30:31], v[30:31], s[36:37]
	v_add_f64 v[22:23], v[34:35], v[22:23]
	v_fma_f64 v[62:63], v[28:29], s[20:21], v[52:53]
	v_add_f64 v[0:1], v[0:1], v[24:25]
	v_add_f64 v[2:3], v[2:3], v[26:27]
	v_fma_f64 v[24:25], v[42:43], s[8:9], -v[46:47]
	v_add_f64 v[26:27], v[12:13], v[54:55]
	v_fma_f64 v[46:47], v[28:29], s[10:11], v[52:53]
	v_fma_f64 v[54:55], v[28:29], s[16:17], v[60:61]
	;; [unrolled: 1-line block ×9, first 2 shown]
	v_add_f64 v[20:21], v[32:33], -v[20:21]
	v_mul_f64 v[32:33], v[80:81], s[0:1]
	v_mul_f64 v[86:87], v[22:23], s[2:3]
	v_fma_f64 v[28:29], v[28:29], s[34:35], v[30:31]
	v_fma_f64 v[52:53], v[42:43], s[2:3], v[56:57]
	v_add_f64 v[62:63], v[14:15], v[62:63]
	v_add_f64 v[24:25], v[12:13], v[24:25]
	;; [unrolled: 1-line block ×4, first 2 shown]
	v_fma_f64 v[56:57], v[42:43], s[2:3], -v[56:57]
	v_fma_f64 v[66:67], v[42:43], s[22:23], v[64:65]
	v_fma_f64 v[64:65], v[42:43], s[22:23], -v[64:65]
	v_fma_f64 v[76:77], v[42:43], s[28:29], v[70:71]
	v_add_f64 v[60:61], v[14:15], v[60:61]
	v_add_f64 v[74:75], v[14:15], v[74:75]
	;; [unrolled: 1-line block ×4, first 2 shown]
	v_fma_f64 v[70:71], v[42:43], s[28:29], -v[70:71]
	v_add_f64 v[72:73], v[14:15], v[72:73]
	v_fma_f64 v[40:41], v[42:43], s[36:37], -v[40:41]
	v_add_f64 v[30:31], v[12:13], v[34:35]
	v_add_f64 v[34:35], v[14:15], v[82:83]
	v_mul_f64 v[42:43], v[80:81], s[26:27]
	v_mul_f64 v[82:83], v[22:23], s[28:29]
	v_fma_f64 v[88:89], v[84:85], s[2:3], v[32:33]
	v_fma_f64 v[90:91], v[20:21], s[16:17], v[86:87]
	v_add_f64 v[14:15], v[14:15], v[28:29]
	v_fma_f64 v[28:29], v[84:85], s[2:3], -v[32:33]
	v_fma_f64 v[32:33], v[20:21], s[0:1], v[86:87]
	v_add_f64 v[52:53], v[12:13], v[52:53]
	v_add_f64 v[56:57], v[12:13], v[56:57]
	;; [unrolled: 1-line block ×7, first 2 shown]
	v_fma_f64 v[40:41], v[84:85], s[28:29], v[42:43]
	v_fma_f64 v[86:87], v[20:21], s[30:31], v[82:83]
	v_add_f64 v[26:27], v[88:89], v[26:27]
	v_add_f64 v[62:63], v[90:91], v[62:63]
	v_mul_f64 v[88:89], v[80:81], s[38:39]
	v_mul_f64 v[90:91], v[22:23], s[36:37]
	v_add_f64 v[24:25], v[28:29], v[24:25]
	v_add_f64 v[28:29], v[32:33], v[46:47]
	v_fma_f64 v[42:43], v[84:85], s[28:29], -v[42:43]
	v_fma_f64 v[46:47], v[20:21], s[26:27], v[82:83]
	v_mul_f64 v[82:83], v[80:81], s[24:25]
	v_add_f64 v[32:33], v[40:41], v[52:53]
	v_add_f64 v[40:41], v[86:87], v[54:55]
	v_fma_f64 v[52:53], v[84:85], s[36:37], v[88:89]
	v_fma_f64 v[54:55], v[20:21], s[34:35], v[90:91]
	v_mul_f64 v[86:87], v[22:23], s[22:23]
	v_fma_f64 v[90:91], v[20:21], s[38:39], v[90:91]
	v_add_f64 v[42:43], v[42:43], v[56:57]
	v_fma_f64 v[56:57], v[84:85], s[22:23], v[82:83]
	v_mul_f64 v[80:81], v[80:81], s[20:21]
	v_mul_f64 v[22:23], v[22:23], s[8:9]
	v_add_f64 v[52:53], v[52:53], v[66:67]
	v_add_f64 v[54:55], v[54:55], v[74:75]
	v_fma_f64 v[74:75], v[20:21], s[24:25], v[86:87]
	v_add_f64 v[66:67], v[90:91], v[68:69]
	v_fma_f64 v[68:69], v[84:85], s[22:23], -v[82:83]
	v_add_f64 v[56:57], v[56:57], v[76:77]
	v_add_f64 v[76:77], v[38:39], -v[44:45]
	v_add_f64 v[46:47], v[46:47], v[60:61]
	v_fma_f64 v[60:61], v[20:21], s[18:19], v[86:87]
	v_add_f64 v[38:39], v[38:39], v[44:45]
	v_fma_f64 v[88:89], v[84:85], s[36:37], -v[88:89]
	v_add_f64 v[44:45], v[68:69], v[70:71]
	v_add_f64 v[68:69], v[74:75], v[72:73]
	v_fma_f64 v[70:71], v[84:85], s[8:9], v[80:81]
	v_fma_f64 v[72:73], v[20:21], s[10:11], v[22:23]
	v_add_f64 v[74:75], v[36:37], v[58:59]
	v_add_f64 v[36:37], v[36:37], -v[58:59]
	v_mul_f64 v[58:59], v[76:77], s[18:19]
	v_add_f64 v[60:61], v[60:61], v[78:79]
	v_mul_f64 v[78:79], v[38:39], s[22:23]
	v_fma_f64 v[20:21], v[20:21], s[20:21], v[22:23]
	v_add_f64 v[22:23], v[70:71], v[30:31]
	v_add_f64 v[30:31], v[72:73], v[34:35]
	v_mul_f64 v[34:35], v[76:77], s[38:39]
	v_fma_f64 v[80:81], v[84:85], s[8:9], -v[80:81]
	v_fma_f64 v[72:73], v[74:75], s[22:23], v[58:59]
	v_mul_f64 v[70:71], v[38:39], s[36:37]
	v_fma_f64 v[82:83], v[36:37], s[24:25], v[78:79]
	v_add_f64 v[14:15], v[20:21], v[14:15]
	v_fma_f64 v[20:21], v[74:75], s[22:23], -v[58:59]
	v_fma_f64 v[58:59], v[36:37], s[18:19], v[78:79]
	v_fma_f64 v[78:79], v[74:75], s[36:37], v[34:35]
	v_add_f64 v[12:13], v[80:81], v[12:13]
	v_add_f64 v[26:27], v[72:73], v[26:27]
	v_mul_f64 v[72:73], v[76:77], s[16:17]
	v_fma_f64 v[80:81], v[36:37], s[34:35], v[70:71]
	v_add_f64 v[62:63], v[82:83], v[62:63]
	v_mul_f64 v[82:83], v[38:39], s[2:3]
	v_add_f64 v[20:21], v[20:21], v[24:25]
	v_add_f64 v[24:25], v[58:59], v[28:29]
	;; [unrolled: 1-line block ×3, first 2 shown]
	v_fma_f64 v[34:35], v[74:75], s[36:37], -v[34:35]
	v_fma_f64 v[58:59], v[74:75], s[2:3], v[72:73]
	v_mul_f64 v[78:79], v[76:77], s[10:11]
	v_add_f64 v[64:65], v[88:89], v[64:65]
	v_add_f64 v[32:33], v[80:81], v[40:41]
	v_fma_f64 v[40:41], v[36:37], s[38:39], v[70:71]
	v_fma_f64 v[70:71], v[36:37], s[0:1], v[82:83]
	v_fma_f64 v[72:73], v[74:75], s[2:3], -v[72:73]
	v_fma_f64 v[82:83], v[36:37], s[16:17], v[82:83]
	v_add_f64 v[34:35], v[34:35], v[42:43]
	v_add_f64 v[42:43], v[58:59], v[52:53]
	v_fma_f64 v[52:53], v[74:75], s[8:9], v[78:79]
	v_mul_f64 v[80:81], v[38:39], s[8:9]
	v_add_f64 v[40:41], v[40:41], v[46:47]
	v_add_f64 v[46:47], v[70:71], v[54:55]
	;; [unrolled: 1-line block ×4, first 2 shown]
	v_mul_f64 v[66:67], v[76:77], s[26:27]
	v_fma_f64 v[70:71], v[74:75], s[8:9], -v[78:79]
	v_add_f64 v[52:53], v[52:53], v[56:57]
	v_add_f64 v[56:57], v[48:49], -v[18:19]
	v_fma_f64 v[54:55], v[36:37], s[20:21], v[80:81]
	v_mul_f64 v[38:39], v[38:39], s[28:29]
	v_fma_f64 v[72:73], v[36:37], s[10:11], v[80:81]
	v_add_f64 v[18:19], v[48:49], v[18:19]
	v_fma_f64 v[48:49], v[74:75], s[28:29], v[66:67]
	v_add_f64 v[44:45], v[70:71], v[44:45]
	v_add_f64 v[70:71], v[50:51], v[16:17]
	v_add_f64 v[16:17], v[50:51], -v[16:17]
	v_mul_f64 v[50:51], v[56:57], s[26:27]
	v_add_f64 v[54:55], v[54:55], v[60:61]
	v_fma_f64 v[60:61], v[36:37], s[30:31], v[38:39]
	v_add_f64 v[68:69], v[72:73], v[68:69]
	v_mul_f64 v[72:73], v[18:19], s[28:29]
	v_add_f64 v[22:23], v[48:49], v[22:23]
	v_fma_f64 v[48:49], v[74:75], s[28:29], -v[66:67]
	v_fma_f64 v[36:37], v[36:37], s[26:27], v[38:39]
	v_fma_f64 v[66:67], v[70:71], s[28:29], v[50:51]
	v_fma_f64 v[50:51], v[70:71], s[28:29], -v[50:51]
	v_add_f64 v[30:31], v[60:61], v[30:31]
	v_mul_f64 v[38:39], v[56:57], s[24:25]
	v_mul_f64 v[60:61], v[18:19], s[22:23]
	v_fma_f64 v[74:75], v[16:17], s[30:31], v[72:73]
	v_fma_f64 v[72:73], v[16:17], s[26:27], v[72:73]
	v_add_f64 v[12:13], v[48:49], v[12:13]
	v_add_f64 v[26:27], v[66:67], v[26:27]
	;; [unrolled: 1-line block ×3, first 2 shown]
	v_mul_f64 v[50:51], v[56:57], s[10:11]
	v_mul_f64 v[66:67], v[18:19], s[8:9]
	v_add_f64 v[14:15], v[36:37], v[14:15]
	v_fma_f64 v[36:37], v[70:71], s[22:23], v[38:39]
	v_fma_f64 v[48:49], v[16:17], s[18:19], v[60:61]
	v_add_f64 v[62:63], v[74:75], v[62:63]
	v_add_f64 v[24:25], v[72:73], v[24:25]
	v_fma_f64 v[38:39], v[70:71], s[22:23], -v[38:39]
	v_fma_f64 v[60:61], v[16:17], s[24:25], v[60:61]
	v_fma_f64 v[72:73], v[70:71], s[8:9], v[50:51]
	;; [unrolled: 1-line block ×3, first 2 shown]
	v_fma_f64 v[50:51], v[70:71], s[8:9], -v[50:51]
	v_add_f64 v[28:29], v[36:37], v[28:29]
	v_add_f64 v[32:33], v[48:49], v[32:33]
	v_mul_f64 v[36:37], v[56:57], s[34:35]
	v_mul_f64 v[48:49], v[18:19], s[36:37]
	v_fma_f64 v[66:67], v[16:17], s[10:11], v[66:67]
	v_add_f64 v[34:35], v[38:39], v[34:35]
	v_add_f64 v[38:39], v[60:61], v[40:41]
	;; [unrolled: 1-line block ×5, first 2 shown]
	v_add_f64 v[58:59], v[6:7], -v[10:11]
	v_add_f64 v[60:61], v[6:7], v[10:11]
	v_mul_f64 v[6:7], v[56:57], s[16:17]
	v_mul_f64 v[10:11], v[18:19], s[2:3]
	v_fma_f64 v[76:77], v[70:71], s[36:37], v[36:37]
	v_fma_f64 v[78:79], v[16:17], s[38:39], v[48:49]
	v_add_f64 v[50:51], v[66:67], v[64:65]
	v_fma_f64 v[18:19], v[70:71], s[36:37], -v[36:37]
	v_fma_f64 v[36:37], v[16:17], s[34:35], v[48:49]
	v_add_f64 v[48:49], v[4:5], v[8:9]
	v_add_f64 v[56:57], v[4:5], -v[8:9]
	v_mul_f64 v[8:9], v[58:59], s[34:35]
	v_fma_f64 v[4:5], v[70:71], s[2:3], v[6:7]
	v_fma_f64 v[66:67], v[16:17], s[0:1], v[10:11]
	v_mul_f64 v[64:65], v[60:61], s[36:37]
	v_fma_f64 v[6:7], v[70:71], s[2:3], -v[6:7]
	v_add_f64 v[68:69], v[36:37], v[68:69]
	v_fma_f64 v[10:11], v[16:17], s[16:17], v[10:11]
	v_add_f64 v[44:45], v[18:19], v[44:45]
	v_fma_f64 v[16:17], v[48:49], s[36:37], v[8:9]
	v_add_f64 v[36:37], v[4:5], v[22:23]
	v_add_f64 v[66:67], v[66:67], v[30:31]
	v_mul_f64 v[22:23], v[58:59], s[20:21]
	v_mul_f64 v[30:31], v[60:61], s[8:9]
	v_fma_f64 v[18:19], v[56:57], s[38:39], v[64:65]
	v_add_f64 v[70:71], v[6:7], v[12:13]
	v_add_f64 v[72:73], v[10:11], v[14:15]
	;; [unrolled: 1-line block ×3, first 2 shown]
	v_fma_f64 v[8:9], v[48:49], s[36:37], -v[8:9]
	v_fma_f64 v[10:11], v[56:57], s[34:35], v[64:65]
	v_fma_f64 v[12:13], v[48:49], s[8:9], v[22:23]
	;; [unrolled: 1-line block ×3, first 2 shown]
	v_mul_f64 v[26:27], v[58:59], s[26:27]
	v_fma_f64 v[16:17], v[48:49], s[8:9], -v[22:23]
	v_mul_f64 v[22:23], v[60:61], s[28:29]
	v_add_f64 v[6:7], v[18:19], v[62:63]
	v_fma_f64 v[18:19], v[56:57], s[20:21], v[30:31]
	v_add_f64 v[8:9], v[8:9], v[20:21]
	v_add_f64 v[10:11], v[10:11], v[24:25]
	;; [unrolled: 1-line block ×4, first 2 shown]
	v_fma_f64 v[20:21], v[48:49], s[28:29], v[26:27]
	v_fma_f64 v[24:25], v[56:57], s[30:31], v[22:23]
	v_fma_f64 v[26:27], v[48:49], s[28:29], -v[26:27]
	v_fma_f64 v[28:29], v[56:57], s[26:27], v[22:23]
	v_mul_f64 v[30:31], v[58:59], s[16:17]
	v_mul_f64 v[32:33], v[60:61], s[2:3]
	v_add_f64 v[16:17], v[16:17], v[34:35]
	v_add_f64 v[18:19], v[18:19], v[38:39]
	v_mul_f64 v[34:35], v[58:59], s[18:19]
	v_mul_f64 v[38:39], v[60:61], s[22:23]
	v_add_f64 v[52:53], v[76:77], v[52:53]
	v_add_f64 v[54:55], v[78:79], v[54:55]
	;; [unrolled: 1-line block ×6, first 2 shown]
	v_fma_f64 v[28:29], v[48:49], s[2:3], v[30:31]
	v_fma_f64 v[40:41], v[56:57], s[0:1], v[32:33]
	;; [unrolled: 1-line block ×4, first 2 shown]
	v_fma_f64 v[42:43], v[48:49], s[2:3], -v[30:31]
	v_fma_f64 v[34:35], v[48:49], s[22:23], -v[34:35]
	v_fma_f64 v[48:49], v[56:57], s[18:19], v[38:39]
	v_fma_f64 v[56:57], v[56:57], s[16:17], v[32:33]
	v_add_f64 v[28:29], v[28:29], v[52:53]
	v_add_f64 v[30:31], v[40:41], v[54:55]
	;; [unrolled: 1-line block ×8, first 2 shown]
	ds_write_b128 v168, v[0:3]
	ds_write_b128 v168, v[4:7] offset:544
	ds_write_b128 v168, v[12:15] offset:1088
	;; [unrolled: 1-line block ×10, first 2 shown]
	s_waitcnt lgkmcnt(0)
	s_barrier
	buffer_load_dword v18, off, s[60:63], 0 offset:60 ; 4-byte Folded Reload
	buffer_load_dword v19, off, s[60:63], 0 offset:64 ; 4-byte Folded Reload
	s_and_b64 s[0:1], exec, vcc
	s_mov_b64 exec, s[0:1]
	s_cbranch_execz .LBB0_23
; %bb.22:
	buffer_load_dword v21, off, s[60:63], 0 offset:56 ; 4-byte Folded Reload
	ds_read_b128 v[4:7], v168
	ds_read_b128 v[8:11], v168 offset:352
	s_waitcnt vmcnt(2)
	v_mad_u64_u32 v[12:13], s[0:1], s6, v18, 0
	v_mad_u64_u32 v[14:15], s[0:1], s4, v187, 0
	s_mul_i32 s3, s5, 0x160
	s_mul_hi_u32 s6, s4, 0x160
	s_waitcnt vmcnt(1)
	v_mad_u64_u32 v[18:19], s[0:1], s7, v18, v[13:14]
	s_mul_i32 s2, s4, 0x160
	s_add_i32 s3, s6, s3
	v_mov_b32_e32 v13, v18
	s_movk_i32 s6, 0x1000
	s_waitcnt vmcnt(0)
	global_load_dwordx4 v[0:3], v21, s[12:13]
	s_waitcnt vmcnt(0) lgkmcnt(1)
	v_mul_f64 v[16:17], v[6:7], v[2:3]
	v_mul_f64 v[2:3], v[4:5], v[2:3]
	v_fma_f64 v[4:5], v[4:5], v[0:1], v[16:17]
	v_fma_f64 v[0:1], v[0:1], v[6:7], -v[2:3]
	v_mad_u64_u32 v[19:20], s[0:1], s5, v187, v[15:16]
	s_mov_b32 s0, 0xb8d015e7
	s_mov_b32 s1, 0x3f65e75b
	v_lshlrev_b64 v[6:7], 4, v[12:13]
	v_mov_b32_e32 v15, v19
	v_mul_f64 v[2:3], v[4:5], s[0:1]
	v_mul_f64 v[4:5], v[0:1], s[0:1]
	v_mov_b32_e32 v16, s15
	v_lshlrev_b64 v[12:13], 4, v[14:15]
	v_add_co_u32_e32 v0, vcc, s14, v6
	v_addc_co_u32_e32 v1, vcc, v16, v7, vcc
	v_add_co_u32_e32 v6, vcc, v0, v12
	v_addc_co_u32_e32 v7, vcc, v1, v13, vcc
	global_store_dwordx4 v[6:7], v[2:5], off
	global_load_dwordx4 v[2:5], v21, s[12:13] offset:352
	v_add_co_u32_e32 v14, vcc, s2, v6
	s_waitcnt vmcnt(0) lgkmcnt(0)
	v_mul_f64 v[12:13], v[10:11], v[4:5]
	v_mul_f64 v[4:5], v[8:9], v[4:5]
	v_fma_f64 v[8:9], v[8:9], v[2:3], v[12:13]
	v_fma_f64 v[4:5], v[2:3], v[10:11], -v[4:5]
	v_mul_f64 v[2:3], v[8:9], s[0:1]
	v_mul_f64 v[4:5], v[4:5], s[0:1]
	v_mov_b32_e32 v8, s3
	v_addc_co_u32_e32 v15, vcc, v7, v8, vcc
	global_store_dwordx4 v[14:15], v[2:5], off
	global_load_dwordx4 v[2:5], v21, s[12:13] offset:704
	ds_read_b128 v[6:9], v168 offset:704
	ds_read_b128 v[10:13], v168 offset:1056
	s_waitcnt vmcnt(0) lgkmcnt(1)
	v_mul_f64 v[16:17], v[8:9], v[4:5]
	v_mul_f64 v[4:5], v[6:7], v[4:5]
	v_fma_f64 v[6:7], v[6:7], v[2:3], v[16:17]
	v_fma_f64 v[4:5], v[2:3], v[8:9], -v[4:5]
	v_mul_f64 v[2:3], v[6:7], s[0:1]
	v_mul_f64 v[4:5], v[4:5], s[0:1]
	v_mov_b32_e32 v7, s3
	v_add_co_u32_e32 v6, vcc, s2, v14
	v_addc_co_u32_e32 v7, vcc, v15, v7, vcc
	v_add_co_u32_e32 v14, vcc, s2, v6
	global_store_dwordx4 v[6:7], v[2:5], off
	global_load_dwordx4 v[2:5], v21, s[12:13] offset:1056
	s_waitcnt vmcnt(0) lgkmcnt(0)
	v_mul_f64 v[8:9], v[12:13], v[4:5]
	v_mul_f64 v[4:5], v[10:11], v[4:5]
	v_fma_f64 v[8:9], v[10:11], v[2:3], v[8:9]
	v_fma_f64 v[4:5], v[2:3], v[12:13], -v[4:5]
	v_mul_f64 v[2:3], v[8:9], s[0:1]
	v_mul_f64 v[4:5], v[4:5], s[0:1]
	v_mov_b32_e32 v8, s3
	v_addc_co_u32_e32 v15, vcc, v7, v8, vcc
	global_store_dwordx4 v[14:15], v[2:5], off
	global_load_dwordx4 v[2:5], v21, s[12:13] offset:1408
	ds_read_b128 v[6:9], v168 offset:1408
	ds_read_b128 v[10:13], v168 offset:1760
	s_waitcnt vmcnt(0) lgkmcnt(1)
	v_mul_f64 v[16:17], v[8:9], v[4:5]
	v_mul_f64 v[4:5], v[6:7], v[4:5]
	v_fma_f64 v[6:7], v[6:7], v[2:3], v[16:17]
	v_fma_f64 v[4:5], v[2:3], v[8:9], -v[4:5]
	v_mul_f64 v[2:3], v[6:7], s[0:1]
	v_mul_f64 v[4:5], v[4:5], s[0:1]
	v_mov_b32_e32 v7, s3
	v_add_co_u32_e32 v6, vcc, s2, v14
	v_addc_co_u32_e32 v7, vcc, v15, v7, vcc
	v_add_co_u32_e32 v14, vcc, s2, v6
	global_store_dwordx4 v[6:7], v[2:5], off
	global_load_dwordx4 v[2:5], v21, s[12:13] offset:1760
	;; [unrolled: 26-line block ×4, first 2 shown]
	s_waitcnt vmcnt(0) lgkmcnt(0)
	v_mul_f64 v[8:9], v[12:13], v[4:5]
	v_mul_f64 v[4:5], v[10:11], v[4:5]
	v_fma_f64 v[8:9], v[10:11], v[2:3], v[8:9]
	v_fma_f64 v[4:5], v[2:3], v[12:13], -v[4:5]
	v_mul_f64 v[2:3], v[8:9], s[0:1]
	v_mul_f64 v[4:5], v[4:5], s[0:1]
	v_mov_b32_e32 v8, s3
	v_addc_co_u32_e32 v15, vcc, v7, v8, vcc
	global_store_dwordx4 v[14:15], v[2:5], off
	global_load_dwordx4 v[2:5], v21, s[12:13] offset:3520
	ds_read_b128 v[6:9], v168 offset:3520
	ds_read_b128 v[10:13], v168 offset:3872
	s_waitcnt vmcnt(0) lgkmcnt(1)
	v_mul_f64 v[16:17], v[8:9], v[4:5]
	v_mul_f64 v[4:5], v[6:7], v[4:5]
	v_fma_f64 v[6:7], v[6:7], v[2:3], v[16:17]
	v_fma_f64 v[4:5], v[2:3], v[8:9], -v[4:5]
	v_mul_f64 v[2:3], v[6:7], s[0:1]
	v_mul_f64 v[4:5], v[4:5], s[0:1]
	v_mov_b32_e32 v7, s3
	v_add_co_u32_e32 v6, vcc, s2, v14
	v_addc_co_u32_e32 v7, vcc, v15, v7, vcc
	v_mov_b32_e32 v14, s13
	global_store_dwordx4 v[6:7], v[2:5], off
	global_load_dwordx4 v[2:5], v21, s[12:13] offset:3872
	s_waitcnt vmcnt(0) lgkmcnt(0)
	v_mul_f64 v[8:9], v[12:13], v[4:5]
	v_mul_f64 v[4:5], v[10:11], v[4:5]
	v_fma_f64 v[8:9], v[10:11], v[2:3], v[8:9]
	v_fma_f64 v[4:5], v[2:3], v[12:13], -v[4:5]
	v_add_co_u32_e32 v10, vcc, s12, v21
	v_addc_co_u32_e32 v11, vcc, 0, v14, vcc
	v_add_co_u32_e32 v14, vcc, s6, v10
	v_mul_f64 v[2:3], v[8:9], s[0:1]
	v_mul_f64 v[4:5], v[4:5], s[0:1]
	v_addc_co_u32_e32 v15, vcc, 0, v11, vcc
	v_mov_b32_e32 v12, s3
	v_add_co_u32_e32 v16, vcc, s2, v6
	v_addc_co_u32_e32 v17, vcc, v7, v12, vcc
	global_store_dwordx4 v[16:17], v[2:5], off
	global_load_dwordx4 v[2:5], v[14:15], off offset:128
	ds_read_b128 v[6:9], v168 offset:4224
	ds_read_b128 v[10:13], v168 offset:4576
	s_waitcnt vmcnt(0) lgkmcnt(1)
	v_mul_f64 v[18:19], v[8:9], v[4:5]
	v_mul_f64 v[4:5], v[6:7], v[4:5]
	v_fma_f64 v[6:7], v[6:7], v[2:3], v[18:19]
	v_fma_f64 v[4:5], v[2:3], v[8:9], -v[4:5]
	v_mul_f64 v[2:3], v[6:7], s[0:1]
	v_mul_f64 v[4:5], v[4:5], s[0:1]
	v_mov_b32_e32 v7, s3
	v_add_co_u32_e32 v6, vcc, s2, v16
	v_addc_co_u32_e32 v7, vcc, v17, v7, vcc
	v_add_co_u32_e32 v16, vcc, s2, v6
	global_store_dwordx4 v[6:7], v[2:5], off
	global_load_dwordx4 v[2:5], v[14:15], off offset:480
	s_waitcnt vmcnt(0) lgkmcnt(0)
	v_mul_f64 v[8:9], v[12:13], v[4:5]
	v_mul_f64 v[4:5], v[10:11], v[4:5]
	v_fma_f64 v[8:9], v[10:11], v[2:3], v[8:9]
	v_fma_f64 v[4:5], v[2:3], v[12:13], -v[4:5]
	v_mul_f64 v[2:3], v[8:9], s[0:1]
	v_mul_f64 v[4:5], v[4:5], s[0:1]
	v_mov_b32_e32 v8, s3
	v_addc_co_u32_e32 v17, vcc, v7, v8, vcc
	global_store_dwordx4 v[16:17], v[2:5], off
	global_load_dwordx4 v[2:5], v[14:15], off offset:832
	ds_read_b128 v[6:9], v168 offset:4928
	ds_read_b128 v[10:13], v168 offset:5280
	s_waitcnt vmcnt(0) lgkmcnt(1)
	v_mul_f64 v[18:19], v[8:9], v[4:5]
	v_mul_f64 v[4:5], v[6:7], v[4:5]
	v_fma_f64 v[6:7], v[6:7], v[2:3], v[18:19]
	v_fma_f64 v[4:5], v[2:3], v[8:9], -v[4:5]
	v_mul_f64 v[2:3], v[6:7], s[0:1]
	v_mul_f64 v[4:5], v[4:5], s[0:1]
	v_mov_b32_e32 v7, s3
	v_add_co_u32_e32 v6, vcc, s2, v16
	v_addc_co_u32_e32 v7, vcc, v17, v7, vcc
	global_store_dwordx4 v[6:7], v[2:5], off
	global_load_dwordx4 v[2:5], v[14:15], off offset:1184
	v_add_co_u32_e32 v6, vcc, s2, v6
	s_waitcnt vmcnt(0) lgkmcnt(0)
	v_mul_f64 v[8:9], v[12:13], v[4:5]
	v_mul_f64 v[4:5], v[10:11], v[4:5]
	v_fma_f64 v[8:9], v[10:11], v[2:3], v[8:9]
	v_fma_f64 v[4:5], v[2:3], v[12:13], -v[4:5]
	v_or_b32_e32 v12, 0x160, v187
	v_mul_f64 v[2:3], v[8:9], s[0:1]
	v_mul_f64 v[4:5], v[4:5], s[0:1]
	v_mov_b32_e32 v9, s3
	v_addc_co_u32_e32 v7, vcc, v7, v9, vcc
	v_lshlrev_b32_e32 v8, 4, v12
	global_store_dwordx4 v[6:7], v[2:5], off
	global_load_dwordx4 v[2:5], v8, s[12:13]
	ds_read_b128 v[6:9], v168 offset:5632
	s_waitcnt vmcnt(0) lgkmcnt(0)
	v_mul_f64 v[10:11], v[8:9], v[4:5]
	v_mul_f64 v[4:5], v[6:7], v[4:5]
	v_fma_f64 v[6:7], v[6:7], v[2:3], v[10:11]
	v_fma_f64 v[4:5], v[2:3], v[8:9], -v[4:5]
	v_mad_u64_u32 v[8:9], s[2:3], s4, v12, 0
	v_mov_b32_e32 v2, v9
	v_mad_u64_u32 v[9:10], s[2:3], s5, v12, v[2:3]
	v_mul_f64 v[2:3], v[6:7], s[0:1]
	v_mul_f64 v[4:5], v[4:5], s[0:1]
	v_lshlrev_b64 v[6:7], 4, v[8:9]
	v_add_co_u32_e32 v0, vcc, v0, v6
	v_addc_co_u32_e32 v1, vcc, v1, v7, vcc
	global_store_dwordx4 v[0:1], v[2:5], off
.LBB0_23:
	s_endpgm
	.section	.rodata,"a",@progbits
	.p2align	6, 0x0
	.amdhsa_kernel bluestein_single_fwd_len374_dim1_dp_op_CI_CI
		.amdhsa_group_segment_fixed_size 41888
		.amdhsa_private_segment_fixed_size 700
		.amdhsa_kernarg_size 104
		.amdhsa_user_sgpr_count 6
		.amdhsa_user_sgpr_private_segment_buffer 1
		.amdhsa_user_sgpr_dispatch_ptr 0
		.amdhsa_user_sgpr_queue_ptr 0
		.amdhsa_user_sgpr_kernarg_segment_ptr 1
		.amdhsa_user_sgpr_dispatch_id 0
		.amdhsa_user_sgpr_flat_scratch_init 0
		.amdhsa_user_sgpr_private_segment_size 0
		.amdhsa_uses_dynamic_stack 0
		.amdhsa_system_sgpr_private_segment_wavefront_offset 1
		.amdhsa_system_sgpr_workgroup_id_x 1
		.amdhsa_system_sgpr_workgroup_id_y 0
		.amdhsa_system_sgpr_workgroup_id_z 0
		.amdhsa_system_sgpr_workgroup_info 0
		.amdhsa_system_vgpr_workitem_id 0
		.amdhsa_next_free_vgpr 256
		.amdhsa_next_free_sgpr 64
		.amdhsa_reserve_vcc 1
		.amdhsa_reserve_flat_scratch 0
		.amdhsa_float_round_mode_32 0
		.amdhsa_float_round_mode_16_64 0
		.amdhsa_float_denorm_mode_32 3
		.amdhsa_float_denorm_mode_16_64 3
		.amdhsa_dx10_clamp 1
		.amdhsa_ieee_mode 1
		.amdhsa_fp16_overflow 0
		.amdhsa_exception_fp_ieee_invalid_op 0
		.amdhsa_exception_fp_denorm_src 0
		.amdhsa_exception_fp_ieee_div_zero 0
		.amdhsa_exception_fp_ieee_overflow 0
		.amdhsa_exception_fp_ieee_underflow 0
		.amdhsa_exception_fp_ieee_inexact 0
		.amdhsa_exception_int_div_zero 0
	.end_amdhsa_kernel
	.text
.Lfunc_end0:
	.size	bluestein_single_fwd_len374_dim1_dp_op_CI_CI, .Lfunc_end0-bluestein_single_fwd_len374_dim1_dp_op_CI_CI
                                        ; -- End function
	.section	.AMDGPU.csdata,"",@progbits
; Kernel info:
; codeLenInByte = 31084
; NumSgprs: 68
; NumVgprs: 256
; ScratchSize: 700
; MemoryBound: 0
; FloatMode: 240
; IeeeMode: 1
; LDSByteSize: 41888 bytes/workgroup (compile time only)
; SGPRBlocks: 8
; VGPRBlocks: 63
; NumSGPRsForWavesPerEU: 68
; NumVGPRsForWavesPerEU: 256
; Occupancy: 1
; WaveLimiterHint : 1
; COMPUTE_PGM_RSRC2:SCRATCH_EN: 1
; COMPUTE_PGM_RSRC2:USER_SGPR: 6
; COMPUTE_PGM_RSRC2:TRAP_HANDLER: 0
; COMPUTE_PGM_RSRC2:TGID_X_EN: 1
; COMPUTE_PGM_RSRC2:TGID_Y_EN: 0
; COMPUTE_PGM_RSRC2:TGID_Z_EN: 0
; COMPUTE_PGM_RSRC2:TIDIG_COMP_CNT: 0
	.type	__hip_cuid_385b6b8a0210700a,@object ; @__hip_cuid_385b6b8a0210700a
	.section	.bss,"aw",@nobits
	.globl	__hip_cuid_385b6b8a0210700a
__hip_cuid_385b6b8a0210700a:
	.byte	0                               ; 0x0
	.size	__hip_cuid_385b6b8a0210700a, 1

	.ident	"AMD clang version 19.0.0git (https://github.com/RadeonOpenCompute/llvm-project roc-6.4.0 25133 c7fe45cf4b819c5991fe208aaa96edf142730f1d)"
	.section	".note.GNU-stack","",@progbits
	.addrsig
	.addrsig_sym __hip_cuid_385b6b8a0210700a
	.amdgpu_metadata
---
amdhsa.kernels:
  - .args:
      - .actual_access:  read_only
        .address_space:  global
        .offset:         0
        .size:           8
        .value_kind:     global_buffer
      - .actual_access:  read_only
        .address_space:  global
        .offset:         8
        .size:           8
        .value_kind:     global_buffer
      - .actual_access:  read_only
        .address_space:  global
        .offset:         16
        .size:           8
        .value_kind:     global_buffer
      - .actual_access:  read_only
        .address_space:  global
        .offset:         24
        .size:           8
        .value_kind:     global_buffer
      - .actual_access:  read_only
        .address_space:  global
        .offset:         32
        .size:           8
        .value_kind:     global_buffer
      - .offset:         40
        .size:           8
        .value_kind:     by_value
      - .address_space:  global
        .offset:         48
        .size:           8
        .value_kind:     global_buffer
      - .address_space:  global
        .offset:         56
        .size:           8
        .value_kind:     global_buffer
      - .address_space:  global
        .offset:         64
        .size:           8
        .value_kind:     global_buffer
      - .address_space:  global
        .offset:         72
        .size:           8
        .value_kind:     global_buffer
      - .offset:         80
        .size:           4
        .value_kind:     by_value
      - .address_space:  global
        .offset:         88
        .size:           8
        .value_kind:     global_buffer
      - .address_space:  global
        .offset:         96
        .size:           8
        .value_kind:     global_buffer
    .group_segment_fixed_size: 41888
    .kernarg_segment_align: 8
    .kernarg_segment_size: 104
    .language:       OpenCL C
    .language_version:
      - 2
      - 0
    .max_flat_workgroup_size: 238
    .name:           bluestein_single_fwd_len374_dim1_dp_op_CI_CI
    .private_segment_fixed_size: 700
    .sgpr_count:     68
    .sgpr_spill_count: 0
    .symbol:         bluestein_single_fwd_len374_dim1_dp_op_CI_CI.kd
    .uniform_work_group_size: 1
    .uses_dynamic_stack: false
    .vgpr_count:     256
    .vgpr_spill_count: 232
    .wavefront_size: 64
amdhsa.target:   amdgcn-amd-amdhsa--gfx906
amdhsa.version:
  - 1
  - 2
...

	.end_amdgpu_metadata
